;; amdgpu-corpus repo=ROCm/rocFFT kind=compiled arch=gfx906 opt=O3
	.text
	.amdgcn_target "amdgcn-amd-amdhsa--gfx906"
	.amdhsa_code_object_version 6
	.protected	fft_rtc_fwd_len1365_factors_13_7_5_3_wgs_182_tpt_91_halfLds_dp_ip_CI_unitstride_sbrr_dirReg ; -- Begin function fft_rtc_fwd_len1365_factors_13_7_5_3_wgs_182_tpt_91_halfLds_dp_ip_CI_unitstride_sbrr_dirReg
	.globl	fft_rtc_fwd_len1365_factors_13_7_5_3_wgs_182_tpt_91_halfLds_dp_ip_CI_unitstride_sbrr_dirReg
	.p2align	8
	.type	fft_rtc_fwd_len1365_factors_13_7_5_3_wgs_182_tpt_91_halfLds_dp_ip_CI_unitstride_sbrr_dirReg,@function
fft_rtc_fwd_len1365_factors_13_7_5_3_wgs_182_tpt_91_halfLds_dp_ip_CI_unitstride_sbrr_dirReg: ; @fft_rtc_fwd_len1365_factors_13_7_5_3_wgs_182_tpt_91_halfLds_dp_ip_CI_unitstride_sbrr_dirReg
; %bb.0:
	s_load_dwordx2 s[12:13], s[4:5], 0x50
	s_load_dwordx4 s[8:11], s[4:5], 0x0
	s_load_dwordx2 s[2:3], s[4:5], 0x18
	v_mul_u32_u24_e32 v1, 0x2d1, v0
	v_lshrrev_b32_e32 v122, 16, v1
	v_mov_b32_e32 v3, 0
	s_waitcnt lgkmcnt(0)
	v_cmp_lt_u64_e64 s[0:1], s[10:11], 2
	v_mov_b32_e32 v1, 0
	v_lshl_add_u32 v5, s6, 1, v122
	v_mov_b32_e32 v6, v3
	s_and_b64 vcc, exec, s[0:1]
	v_mov_b32_e32 v2, 0
	s_cbranch_vccnz .LBB0_8
; %bb.1:
	s_load_dwordx2 s[0:1], s[4:5], 0x10
	s_add_u32 s6, s2, 8
	s_addc_u32 s7, s3, 0
	v_mov_b32_e32 v1, 0
	v_mov_b32_e32 v2, 0
	s_waitcnt lgkmcnt(0)
	s_add_u32 s14, s0, 8
	s_addc_u32 s15, s1, 0
	s_mov_b64 s[16:17], 1
.LBB0_2:                                ; =>This Inner Loop Header: Depth=1
	s_load_dwordx2 s[18:19], s[14:15], 0x0
                                        ; implicit-def: $vgpr7_vgpr8
	s_waitcnt lgkmcnt(0)
	v_or_b32_e32 v4, s19, v6
	v_cmp_ne_u64_e32 vcc, 0, v[3:4]
	s_and_saveexec_b64 s[0:1], vcc
	s_xor_b64 s[20:21], exec, s[0:1]
	s_cbranch_execz .LBB0_4
; %bb.3:                                ;   in Loop: Header=BB0_2 Depth=1
	v_cvt_f32_u32_e32 v4, s18
	v_cvt_f32_u32_e32 v7, s19
	s_sub_u32 s0, 0, s18
	s_subb_u32 s1, 0, s19
	v_mac_f32_e32 v4, 0x4f800000, v7
	v_rcp_f32_e32 v4, v4
	v_mul_f32_e32 v4, 0x5f7ffffc, v4
	v_mul_f32_e32 v7, 0x2f800000, v4
	v_trunc_f32_e32 v7, v7
	v_mac_f32_e32 v4, 0xcf800000, v7
	v_cvt_u32_f32_e32 v7, v7
	v_cvt_u32_f32_e32 v4, v4
	v_mul_lo_u32 v8, s0, v7
	v_mul_hi_u32 v9, s0, v4
	v_mul_lo_u32 v11, s1, v4
	v_mul_lo_u32 v10, s0, v4
	v_add_u32_e32 v8, v9, v8
	v_add_u32_e32 v8, v8, v11
	v_mul_hi_u32 v9, v4, v10
	v_mul_lo_u32 v11, v4, v8
	v_mul_hi_u32 v13, v4, v8
	v_mul_hi_u32 v12, v7, v10
	v_mul_lo_u32 v10, v7, v10
	v_mul_hi_u32 v14, v7, v8
	v_add_co_u32_e32 v9, vcc, v9, v11
	v_addc_co_u32_e32 v11, vcc, 0, v13, vcc
	v_mul_lo_u32 v8, v7, v8
	v_add_co_u32_e32 v9, vcc, v9, v10
	v_addc_co_u32_e32 v9, vcc, v11, v12, vcc
	v_addc_co_u32_e32 v10, vcc, 0, v14, vcc
	v_add_co_u32_e32 v8, vcc, v9, v8
	v_addc_co_u32_e32 v9, vcc, 0, v10, vcc
	v_add_co_u32_e32 v4, vcc, v4, v8
	v_addc_co_u32_e32 v7, vcc, v7, v9, vcc
	v_mul_lo_u32 v8, s0, v7
	v_mul_hi_u32 v9, s0, v4
	v_mul_lo_u32 v10, s1, v4
	v_mul_lo_u32 v11, s0, v4
	v_add_u32_e32 v8, v9, v8
	v_add_u32_e32 v8, v8, v10
	v_mul_lo_u32 v12, v4, v8
	v_mul_hi_u32 v13, v4, v11
	v_mul_hi_u32 v14, v4, v8
	;; [unrolled: 1-line block ×3, first 2 shown]
	v_mul_lo_u32 v11, v7, v11
	v_mul_hi_u32 v9, v7, v8
	v_add_co_u32_e32 v12, vcc, v13, v12
	v_addc_co_u32_e32 v13, vcc, 0, v14, vcc
	v_mul_lo_u32 v8, v7, v8
	v_add_co_u32_e32 v11, vcc, v12, v11
	v_addc_co_u32_e32 v10, vcc, v13, v10, vcc
	v_addc_co_u32_e32 v9, vcc, 0, v9, vcc
	v_add_co_u32_e32 v8, vcc, v10, v8
	v_addc_co_u32_e32 v9, vcc, 0, v9, vcc
	v_add_co_u32_e32 v4, vcc, v4, v8
	v_addc_co_u32_e32 v9, vcc, v7, v9, vcc
	v_mad_u64_u32 v[7:8], s[0:1], v5, v9, 0
	v_mul_hi_u32 v10, v5, v4
	v_add_co_u32_e32 v11, vcc, v10, v7
	v_addc_co_u32_e32 v12, vcc, 0, v8, vcc
	v_mad_u64_u32 v[7:8], s[0:1], v6, v4, 0
	v_mad_u64_u32 v[9:10], s[0:1], v6, v9, 0
	v_add_co_u32_e32 v4, vcc, v11, v7
	v_addc_co_u32_e32 v4, vcc, v12, v8, vcc
	v_addc_co_u32_e32 v7, vcc, 0, v10, vcc
	v_add_co_u32_e32 v4, vcc, v4, v9
	v_addc_co_u32_e32 v9, vcc, 0, v7, vcc
	v_mul_lo_u32 v10, s19, v4
	v_mul_lo_u32 v11, s18, v9
	v_mad_u64_u32 v[7:8], s[0:1], s18, v4, 0
	v_add3_u32 v8, v8, v11, v10
	v_sub_u32_e32 v10, v6, v8
	v_mov_b32_e32 v11, s19
	v_sub_co_u32_e32 v7, vcc, v5, v7
	v_subb_co_u32_e64 v10, s[0:1], v10, v11, vcc
	v_subrev_co_u32_e64 v11, s[0:1], s18, v7
	v_subbrev_co_u32_e64 v10, s[0:1], 0, v10, s[0:1]
	v_cmp_le_u32_e64 s[0:1], s19, v10
	v_cndmask_b32_e64 v12, 0, -1, s[0:1]
	v_cmp_le_u32_e64 s[0:1], s18, v11
	v_cndmask_b32_e64 v11, 0, -1, s[0:1]
	v_cmp_eq_u32_e64 s[0:1], s19, v10
	v_cndmask_b32_e64 v10, v12, v11, s[0:1]
	v_add_co_u32_e64 v11, s[0:1], 2, v4
	v_addc_co_u32_e64 v12, s[0:1], 0, v9, s[0:1]
	v_add_co_u32_e64 v13, s[0:1], 1, v4
	v_addc_co_u32_e64 v14, s[0:1], 0, v9, s[0:1]
	v_subb_co_u32_e32 v8, vcc, v6, v8, vcc
	v_cmp_ne_u32_e64 s[0:1], 0, v10
	v_cmp_le_u32_e32 vcc, s19, v8
	v_cndmask_b32_e64 v10, v14, v12, s[0:1]
	v_cndmask_b32_e64 v12, 0, -1, vcc
	v_cmp_le_u32_e32 vcc, s18, v7
	v_cndmask_b32_e64 v7, 0, -1, vcc
	v_cmp_eq_u32_e32 vcc, s19, v8
	v_cndmask_b32_e32 v7, v12, v7, vcc
	v_cmp_ne_u32_e32 vcc, 0, v7
	v_cndmask_b32_e64 v7, v13, v11, s[0:1]
	v_cndmask_b32_e32 v8, v9, v10, vcc
	v_cndmask_b32_e32 v7, v4, v7, vcc
.LBB0_4:                                ;   in Loop: Header=BB0_2 Depth=1
	s_andn2_saveexec_b64 s[0:1], s[20:21]
	s_cbranch_execz .LBB0_6
; %bb.5:                                ;   in Loop: Header=BB0_2 Depth=1
	v_cvt_f32_u32_e32 v4, s18
	s_sub_i32 s20, 0, s18
	v_rcp_iflag_f32_e32 v4, v4
	v_mul_f32_e32 v4, 0x4f7ffffe, v4
	v_cvt_u32_f32_e32 v4, v4
	v_mul_lo_u32 v7, s20, v4
	v_mul_hi_u32 v7, v4, v7
	v_add_u32_e32 v4, v4, v7
	v_mul_hi_u32 v4, v5, v4
	v_mul_lo_u32 v7, v4, s18
	v_add_u32_e32 v8, 1, v4
	v_sub_u32_e32 v7, v5, v7
	v_subrev_u32_e32 v9, s18, v7
	v_cmp_le_u32_e32 vcc, s18, v7
	v_cndmask_b32_e32 v7, v7, v9, vcc
	v_cndmask_b32_e32 v4, v4, v8, vcc
	v_add_u32_e32 v8, 1, v4
	v_cmp_le_u32_e32 vcc, s18, v7
	v_cndmask_b32_e32 v7, v4, v8, vcc
	v_mov_b32_e32 v8, v3
.LBB0_6:                                ;   in Loop: Header=BB0_2 Depth=1
	s_or_b64 exec, exec, s[0:1]
	v_mul_lo_u32 v4, v8, s18
	v_mul_lo_u32 v11, v7, s19
	v_mad_u64_u32 v[9:10], s[0:1], v7, s18, 0
	s_load_dwordx2 s[0:1], s[6:7], 0x0
	s_add_u32 s16, s16, 1
	v_add3_u32 v4, v10, v11, v4
	v_sub_co_u32_e32 v5, vcc, v5, v9
	v_subb_co_u32_e32 v4, vcc, v6, v4, vcc
	s_waitcnt lgkmcnt(0)
	v_mul_lo_u32 v4, s0, v4
	v_mul_lo_u32 v6, s1, v5
	v_mad_u64_u32 v[1:2], s[0:1], s0, v5, v[1:2]
	s_addc_u32 s17, s17, 0
	s_add_u32 s6, s6, 8
	v_add3_u32 v2, v6, v2, v4
	v_mov_b32_e32 v4, s10
	v_mov_b32_e32 v5, s11
	s_addc_u32 s7, s7, 0
	v_cmp_ge_u64_e32 vcc, s[16:17], v[4:5]
	s_add_u32 s14, s14, 8
	s_addc_u32 s15, s15, 0
	s_cbranch_vccnz .LBB0_9
; %bb.7:                                ;   in Loop: Header=BB0_2 Depth=1
	v_mov_b32_e32 v5, v7
	v_mov_b32_e32 v6, v8
	s_branch .LBB0_2
.LBB0_8:
	v_mov_b32_e32 v8, v6
	v_mov_b32_e32 v7, v5
.LBB0_9:
	s_lshl_b64 s[0:1], s[10:11], 3
	s_add_u32 s0, s2, s0
	s_addc_u32 s1, s3, s1
	s_load_dwordx2 s[2:3], s[0:1], 0x0
	s_load_dwordx2 s[6:7], s[4:5], 0x20
                                        ; implicit-def: $vgpr10_vgpr11
                                        ; implicit-def: $vgpr30_vgpr31
                                        ; implicit-def: $vgpr22_vgpr23
                                        ; implicit-def: $vgpr18_vgpr19
                                        ; implicit-def: $vgpr14_vgpr15
                                        ; implicit-def: $vgpr26_vgpr27
                                        ; implicit-def: $vgpr38_vgpr39
                                        ; implicit-def: $vgpr50_vgpr51
                                        ; implicit-def: $vgpr46_vgpr47
                                        ; implicit-def: $vgpr42_vgpr43
                                        ; implicit-def: $vgpr34_vgpr35
                                        ; implicit-def: $vgpr90_vgpr91
                                        ; implicit-def: $vgpr94_vgpr95
                                        ; implicit-def: $vgpr86_vgpr87
                                        ; implicit-def: $vgpr74_vgpr75
                                        ; implicit-def: $vgpr66_vgpr67
                                        ; implicit-def: $vgpr58_vgpr59
                                        ; implicit-def: $vgpr54_vgpr55
                                        ; implicit-def: $vgpr62_vgpr63
                                        ; implicit-def: $vgpr70_vgpr71
                                        ; implicit-def: $vgpr78_vgpr79
                                        ; implicit-def: $vgpr98_vgpr99
                                        ; implicit-def: $vgpr102_vgpr103
                                        ; implicit-def: $vgpr82_vgpr83
	s_waitcnt lgkmcnt(0)
	v_mad_u64_u32 v[1:2], s[0:1], s2, v7, v[1:2]
	v_mul_lo_u32 v3, s2, v8
	v_mul_lo_u32 v4, s3, v7
	s_mov_b32 s0, 0x2d02d03
	v_mul_hi_u32 v5, v0, s0
	v_cmp_gt_u64_e64 s[0:1], s[6:7], v[7:8]
	v_add3_u32 v2, v4, v2, v3
	v_lshlrev_b64 v[130:131], 4, v[1:2]
	v_mul_u32_u24_e32 v3, 0x5b, v5
	v_sub_u32_e32 v128, v0, v3
                                        ; implicit-def: $vgpr6_vgpr7
                                        ; implicit-def: $vgpr2_vgpr3
	s_and_saveexec_b64 s[2:3], s[0:1]
	s_cbranch_execz .LBB0_13
; %bb.10:
	v_mov_b32_e32 v129, 0
	v_mov_b32_e32 v0, s13
	v_add_co_u32_e32 v2, vcc, s12, v130
	v_addc_co_u32_e32 v3, vcc, v0, v131, vcc
	v_lshlrev_b64 v[0:1], 4, v[128:129]
	s_movk_i32 s4, 0x1000
	v_add_co_u32_e32 v6, vcc, v2, v0
	v_addc_co_u32_e32 v7, vcc, v3, v1, vcc
	v_add_co_u32_e32 v104, vcc, s4, v6
	v_addc_co_u32_e32 v105, vcc, 0, v7, vcc
	s_movk_i32 s4, 0x2000
	v_add_co_u32_e32 v106, vcc, s4, v6
	v_addc_co_u32_e32 v107, vcc, 0, v7, vcc
	s_movk_i32 s4, 0x3000
	;; [unrolled: 3-line block ×3, first 2 shown]
	v_add_co_u32_e32 v110, vcc, s4, v6
	global_load_dwordx4 v[80:83], v[6:7], off
	global_load_dwordx4 v[100:103], v[6:7], off offset:1680
	global_load_dwordx4 v[96:99], v[6:7], off offset:3360
	;; [unrolled: 1-line block ×7, first 2 shown]
	v_addc_co_u32_e32 v111, vcc, 0, v7, vcc
	global_load_dwordx4 v[64:67], v[108:109], off offset:1152
	global_load_dwordx4 v[72:75], v[108:109], off offset:2832
	;; [unrolled: 1-line block ×5, first 2 shown]
	v_cmp_gt_u32_e32 vcc, 14, v128
                                        ; implicit-def: $vgpr0_vgpr1
                                        ; implicit-def: $vgpr32_vgpr33
                                        ; implicit-def: $vgpr40_vgpr41
                                        ; implicit-def: $vgpr44_vgpr45
                                        ; implicit-def: $vgpr48_vgpr49
                                        ; implicit-def: $vgpr36_vgpr37
                                        ; implicit-def: $vgpr24_vgpr25
                                        ; implicit-def: $vgpr12_vgpr13
                                        ; implicit-def: $vgpr16_vgpr17
                                        ; implicit-def: $vgpr20_vgpr21
                                        ; implicit-def: $vgpr28_vgpr29
                                        ; implicit-def: $vgpr8_vgpr9
                                        ; implicit-def: $vgpr4_vgpr5
	s_and_saveexec_b64 s[4:5], vcc
	s_cbranch_execz .LBB0_12
; %bb.11:
	global_load_dwordx4 v[0:3], v[6:7], off offset:1456
	global_load_dwordx4 v[32:35], v[6:7], off offset:3136
	;; [unrolled: 1-line block ×12, first 2 shown]
	v_add_co_u32_e32 v4, vcc, 0x5000, v6
	v_addc_co_u32_e32 v5, vcc, 0, v7, vcc
	global_load_dwordx4 v[4:7], v[4:5], off offset:1136
.LBB0_12:
	s_or_b64 exec, exec, s[4:5]
.LBB0_13:
	s_or_b64 exec, exec, s[2:3]
	s_waitcnt vmcnt(11)
	v_add_f64 v[104:105], v[100:101], v[80:81]
	s_waitcnt vmcnt(0)
	v_add_f64 v[123:124], v[88:89], v[100:101]
	s_mov_b32 s4, 0xe00740e9
	s_mov_b32 s5, 0x3fec55a7
	v_add_f64 v[114:115], v[102:103], -v[90:91]
	v_add_f64 v[125:126], v[92:93], v[96:97]
	s_mov_b32 s22, 0x4267c47c
	s_mov_b32 s6, 0x1ea71119
	v_add_f64 v[104:105], v[96:97], v[104:105]
	v_mul_f64 v[120:121], v[123:124], s[4:5]
	s_mov_b32 s23, 0x3fddbe06
	s_mov_b32 s7, 0x3fe22d96
	v_add_f64 v[112:113], v[98:99], -v[94:95]
	v_add_f64 v[132:133], v[84:85], v[76:77]
	v_mul_f64 v[118:119], v[125:126], s[6:7]
	s_mov_b32 s20, 0x42a4c3d2
	v_add_f64 v[104:105], v[76:77], v[104:105]
	v_fma_f64 v[138:139], v[114:115], s[22:23], v[120:121]
	s_mov_b32 s16, 0xebaa3ed8
	s_mov_b32 s21, 0x3fea55e2
	s_mov_b32 s17, 0x3fbedb7d
	v_add_f64 v[110:111], v[78:79], -v[86:87]
	v_add_f64 v[134:135], v[72:73], v[68:69]
	v_mul_f64 v[116:117], v[132:133], s[16:17]
	v_add_f64 v[104:105], v[68:69], v[104:105]
	v_fma_f64 v[144:145], v[112:113], s[20:21], v[118:119]
	v_add_f64 v[138:139], v[80:81], v[138:139]
	s_mov_b32 s2, 0x66966769
	s_mov_b32 s14, 0xb2365da1
	;; [unrolled: 1-line block ×4, first 2 shown]
	v_add_f64 v[108:109], v[70:71], -v[74:75]
	v_add_f64 v[104:105], v[60:61], v[104:105]
	v_add_f64 v[136:137], v[64:65], v[60:61]
	v_mul_f64 v[146:147], v[134:135], s[14:15]
	v_fma_f64 v[150:151], v[110:111], s[2:3], v[116:117]
	v_add_f64 v[138:139], v[144:145], v[138:139]
	s_mov_b32 s24, 0x2ef20147
	s_mov_b32 s10, 0xd0032e0c
	;; [unrolled: 1-line block ×3, first 2 shown]
	v_add_f64 v[140:141], v[52:53], v[104:105]
	s_mov_b32 s11, 0xbfe7f3cc
	v_add_f64 v[106:107], v[62:63], -v[66:67]
	v_add_f64 v[142:143], v[56:57], v[52:53]
	v_mul_f64 v[148:149], v[123:124], s[6:7]
	v_mul_f64 v[144:145], v[136:137], s[10:11]
	v_fma_f64 v[158:159], v[108:109], s[24:25], v[146:147]
	v_add_f64 v[138:139], v[150:151], v[138:139]
	v_add_f64 v[140:141], v[56:57], v[140:141]
	s_mov_b32 s28, 0x24c2f84
	s_mov_b32 s18, 0x93053d00
	;; [unrolled: 1-line block ×4, first 2 shown]
	v_add_f64 v[104:105], v[54:55], -v[58:59]
	v_mul_f64 v[152:153], v[142:143], s[18:19]
	v_mul_f64 v[154:155], v[125:126], s[14:15]
	v_add_f64 v[140:141], v[64:65], v[140:141]
	v_mul_f64 v[156:157], v[123:124], s[16:17]
	v_fma_f64 v[160:161], v[114:115], s[20:21], v[148:149]
	v_fma_f64 v[164:165], v[106:107], s[28:29], v[144:145]
	v_add_f64 v[138:139], v[158:159], v[138:139]
	s_mov_b32 s26, 0x4bc48dbf
	s_mov_b32 s27, 0x3fcea1e5
	v_mul_f64 v[150:151], v[125:126], s[18:19]
	v_add_f64 v[140:141], v[72:73], v[140:141]
	v_mul_f64 v[162:163], v[132:133], s[18:19]
	v_fma_f64 v[166:167], v[112:113], s[24:25], v[154:155]
	v_fma_f64 v[168:169], v[114:115], s[2:3], v[156:157]
	v_add_f64 v[160:161], v[80:81], v[160:161]
	v_fma_f64 v[158:159], v[104:105], s[26:27], v[152:153]
	v_add_f64 v[138:139], v[164:165], v[138:139]
	;; [unrolled: 2-line block ×3, first 2 shown]
	v_fma_f64 v[172:173], v[110:111], s[26:27], v[162:163]
	v_mul_f64 v[164:165], v[132:133], s[14:15]
	v_add_f64 v[168:169], v[80:81], v[168:169]
	v_add_f64 v[160:161], v[166:167], v[160:161]
	v_mul_f64 v[166:167], v[134:135], s[10:11]
	v_add_f64 v[138:139], v[158:159], v[138:139]
	v_and_b32_e32 v122, 1, v122
	v_add_f64 v[140:141], v[92:93], v[140:141]
	s_movk_i32 s33, 0x68
	v_mov_b32_e32 v127, 0x555
	v_cmp_eq_u32_e32 vcc, 1, v122
	v_cndmask_b32_e32 v129, 0, v127, vcc
	v_mad_u32_u24 v122, v128, s33, 0
	s_mov_b32 s31, 0xbfedeba7
	s_mov_b32 s30, s24
	v_add_f64 v[140:141], v[88:89], v[140:141]
	s_mov_b32 s35, 0xbfe5384d
	s_mov_b32 s34, s28
	v_lshl_add_u32 v192, v129, 3, v122
	v_add_f64 v[168:169], v[170:171], v[168:169]
	v_add_f64 v[160:161], v[172:173], v[160:161]
	v_fma_f64 v[158:159], v[110:111], s[30:31], v[164:165]
	v_fma_f64 v[170:171], v[108:109], s[34:35], v[166:167]
	v_mul_f64 v[172:173], v[134:135], s[4:5]
	v_mul_f64 v[174:175], v[123:124], s[14:15]
	ds_write2_b64 v192, v[140:141], v[138:139] offset1:1
	v_mul_f64 v[138:139], v[123:124], s[10:11]
	s_mov_b32 s41, 0xbfddbe06
	s_mov_b32 s40, s22
	v_add_f64 v[140:141], v[158:159], v[168:169]
	v_add_f64 v[158:159], v[170:171], v[160:161]
	v_fma_f64 v[160:161], v[108:109], s[40:41], v[172:173]
	v_fma_f64 v[168:169], v[114:115], s[24:25], v[174:175]
	v_mul_f64 v[170:171], v[125:126], s[10:11]
	v_fma_f64 v[176:177], v[114:115], s[28:29], v[138:139]
	v_mul_f64 v[178:179], v[125:126], s[16:17]
	v_mul_f64 v[180:181], v[136:137], s[16:17]
	;; [unrolled: 1-line block ×3, first 2 shown]
	s_mov_b32 s37, 0xbfefc445
	s_mov_b32 s36, s2
	v_add_f64 v[168:169], v[80:81], v[168:169]
	v_fma_f64 v[184:185], v[112:113], s[34:35], v[170:171]
	v_add_f64 v[176:177], v[80:81], v[176:177]
	v_fma_f64 v[186:187], v[112:113], s[36:37], v[178:179]
	v_mul_f64 v[188:189], v[132:133], s[4:5]
	v_mul_f64 v[190:191], v[132:133], s[6:7]
	v_fma_f64 v[193:194], v[106:107], s[36:37], v[180:181]
	v_add_f64 v[140:141], v[160:161], v[140:141]
	v_fma_f64 v[160:161], v[106:107], s[20:21], v[182:183]
	v_mul_f64 v[195:196], v[142:143], s[4:5]
	v_add_f64 v[168:169], v[184:185], v[168:169]
	v_add_f64 v[176:177], v[186:187], v[176:177]
	v_fma_f64 v[184:185], v[110:111], s[40:41], v[188:189]
	v_fma_f64 v[186:187], v[110:111], s[20:21], v[190:191]
	v_add_f64 v[158:159], v[193:194], v[158:159]
	v_mul_f64 v[193:194], v[134:135], s[16:17]
	v_add_f64 v[140:141], v[160:161], v[140:141]
	v_fma_f64 v[160:161], v[104:105], s[40:41], v[195:196]
	v_mul_f64 v[197:198], v[134:135], s[18:19]
	v_mul_f64 v[122:123], v[123:124], s[18:19]
	s_mov_b32 s39, 0xbfcea1e5
	s_mov_b32 s38, s26
	v_mul_f64 v[199:200], v[142:143], s[10:11]
	v_add_f64 v[168:169], v[184:185], v[168:169]
	v_add_f64 v[176:177], v[186:187], v[176:177]
	v_fma_f64 v[184:185], v[108:109], s[2:3], v[193:194]
	v_fma_f64 v[186:187], v[108:109], s[38:39], v[197:198]
	v_mul_f64 v[201:202], v[136:137], s[18:19]
	v_add_f64 v[203:204], v[160:161], v[158:159]
	v_fma_f64 v[160:161], v[114:115], s[26:27], v[122:123]
	v_mul_f64 v[124:125], v[125:126], s[4:5]
	v_fma_f64 v[122:123], v[114:115], s[38:39], v[122:123]
	v_fma_f64 v[158:159], v[104:105], s[28:29], v[199:200]
	v_add_f64 v[126:127], v[184:185], v[168:169]
	v_add_f64 v[168:169], v[186:187], v[176:177]
	v_fma_f64 v[176:177], v[106:107], s[38:39], v[201:202]
	v_mul_f64 v[184:185], v[136:137], s[4:5]
	v_mul_f64 v[186:187], v[142:143], s[6:7]
	v_add_f64 v[160:161], v[80:81], v[160:161]
	v_fma_f64 v[205:206], v[112:113], s[40:41], v[124:125]
	v_add_f64 v[122:123], v[80:81], v[122:123]
	v_fma_f64 v[124:125], v[112:113], s[22:23], v[124:125]
	v_mul_f64 v[132:133], v[132:133], s[10:11]
	s_mov_b32 s43, 0xbfea55e2
	s_mov_b32 s42, s20
	v_add_f64 v[126:127], v[176:177], v[126:127]
	v_fma_f64 v[176:177], v[106:107], s[40:41], v[184:185]
	v_fma_f64 v[207:208], v[104:105], s[42:43], v[186:187]
	v_add_f64 v[160:161], v[205:206], v[160:161]
	v_add_f64 v[122:123], v[124:125], v[122:123]
	v_fma_f64 v[124:125], v[110:111], s[28:29], v[132:133]
	v_fma_f64 v[132:133], v[110:111], s[34:35], v[132:133]
	v_add_f64 v[205:206], v[158:159], v[140:141]
	v_mul_f64 v[134:135], v[134:135], s[6:7]
	v_fma_f64 v[158:159], v[114:115], s[30:31], v[174:175]
	v_add_f64 v[140:141], v[176:177], v[168:169]
	v_add_f64 v[207:208], v[207:208], v[126:127]
	v_mul_f64 v[126:127], v[142:143], s[14:15]
	v_add_f64 v[124:125], v[124:125], v[160:161]
	v_add_f64 v[122:123], v[132:133], v[122:123]
	v_fma_f64 v[132:133], v[114:115], s[34:35], v[138:139]
	v_fma_f64 v[138:139], v[108:109], s[42:43], v[134:135]
	;; [unrolled: 1-line block ×3, first 2 shown]
	v_mul_f64 v[136:137], v[136:137], s[14:15]
	v_add_f64 v[158:159], v[80:81], v[158:159]
	v_fma_f64 v[168:169], v[112:113], s[28:29], v[170:171]
	v_fma_f64 v[160:161], v[104:105], s[24:25], v[126:127]
	;; [unrolled: 1-line block ×3, first 2 shown]
	v_add_f64 v[132:133], v[80:81], v[132:133]
	v_add_f64 v[124:125], v[138:139], v[124:125]
	;; [unrolled: 1-line block ×3, first 2 shown]
	v_fma_f64 v[134:135], v[106:107], s[24:25], v[136:137]
	v_mul_f64 v[138:139], v[142:143], s[16:17]
	v_fma_f64 v[136:137], v[106:107], s[30:31], v[136:137]
	v_add_f64 v[142:143], v[168:169], v[158:159]
	v_fma_f64 v[158:159], v[110:111], s[22:23], v[188:189]
	v_add_f64 v[132:133], v[170:171], v[132:133]
	;; [unrolled: 2-line block ×3, first 2 shown]
	v_add_f64 v[124:125], v[134:135], v[124:125]
	v_fma_f64 v[134:135], v[104:105], s[36:37], v[138:139]
	v_add_f64 v[122:123], v[136:137], v[122:123]
	v_fma_f64 v[136:137], v[114:115], s[42:43], v[148:149]
	;; [unrolled: 2-line block ×3, first 2 shown]
	v_fma_f64 v[148:149], v[114:115], s[36:37], v[156:157]
	v_add_f64 v[132:133], v[168:169], v[132:133]
	v_fma_f64 v[156:157], v[108:109], s[26:27], v[197:198]
	v_add_f64 v[193:194], v[134:135], v[124:125]
	;; [unrolled: 2-line block ×5, first 2 shown]
	v_add_f64 v[132:133], v[156:157], v[132:133]
	v_fma_f64 v[112:113], v[112:113], s[42:43], v[118:119]
	v_add_f64 v[80:81], v[80:81], v[114:115]
	v_fma_f64 v[118:119], v[110:111], s[38:39], v[162:163]
	;; [unrolled: 2-line block ×3, first 2 shown]
	v_fma_f64 v[142:143], v[106:107], s[26:27], v[201:202]
	v_add_f64 v[124:125], v[136:137], v[140:141]
	v_fma_f64 v[136:137], v[110:111], s[24:25], v[164:165]
	v_fma_f64 v[110:111], v[110:111], s[36:37], v[116:117]
	v_add_f64 v[80:81], v[112:113], v[80:81]
	v_fma_f64 v[138:139], v[104:105], s[2:3], v[138:139]
	v_add_f64 v[112:113], v[118:119], v[114:115]
	;; [unrolled: 2-line block ×5, first 2 shown]
	v_add_f64 v[134:135], v[142:143], v[134:135]
	v_fma_f64 v[124:125], v[104:105], s[20:21], v[186:187]
	v_add_f64 v[110:111], v[114:115], v[112:113]
	v_fma_f64 v[126:127], v[104:105], s[30:31], v[126:127]
	v_fma_f64 v[112:113], v[106:107], s[2:3], v[180:181]
	v_add_f64 v[114:115], v[120:121], v[118:119]
	v_add_f64 v[120:121], v[34:35], -v[6:7]
	v_fma_f64 v[118:119], v[106:107], s[42:43], v[182:183]
	v_add_f64 v[80:81], v[108:109], v[80:81]
	v_add_f64 v[166:167], v[4:5], v[32:33]
	v_add_f64 v[132:133], v[42:43], -v[10:11]
	v_add_f64 v[197:198], v[138:139], v[122:123]
	v_add_f64 v[201:202], v[124:125], v[134:135]
	;; [unrolled: 1-line block ×3, first 2 shown]
	v_mul_f64 v[108:109], v[120:121], s[40:41]
	v_add_f64 v[112:113], v[112:113], v[110:111]
	v_fma_f64 v[116:117], v[104:105], s[22:23], v[195:196]
	v_add_f64 v[118:119], v[118:119], v[114:115]
	v_mul_f64 v[110:111], v[120:121], s[42:43]
	v_fma_f64 v[124:125], v[104:105], s[34:35], v[199:200]
	v_fma_f64 v[126:127], v[106:107], s[34:35], v[144:145]
	v_mul_f64 v[114:115], v[120:121], s[36:37]
	v_fma_f64 v[134:135], v[166:167], s[4:5], -v[108:109]
	v_add_f64 v[122:123], v[8:9], v[40:41]
	v_mul_f64 v[106:107], v[132:133], s[42:43]
	v_add_f64 v[195:196], v[116:117], v[112:113]
	v_fma_f64 v[136:137], v[166:167], s[6:7], -v[110:111]
	v_add_f64 v[199:200], v[124:125], v[118:119]
	v_mul_f64 v[112:113], v[132:133], s[30:31]
	v_fma_f64 v[124:125], v[166:167], s[16:17], -v[114:115]
	v_mul_f64 v[116:117], v[132:133], s[38:39]
	v_add_f64 v[80:81], v[126:127], v[80:81]
	v_add_f64 v[126:127], v[0:1], v[134:135]
	v_fma_f64 v[134:135], v[122:123], s[6:7], -v[106:107]
	v_mul_f64 v[118:119], v[120:121], s[30:31]
	v_add_f64 v[136:137], v[0:1], v[136:137]
	v_fma_f64 v[138:139], v[122:123], s[14:15], -v[112:113]
	v_add_f64 v[124:125], v[0:1], v[124:125]
	v_fma_f64 v[140:141], v[122:123], s[18:19], -v[116:117]
	v_fma_f64 v[142:143], v[104:105], s[38:39], v[152:153]
	v_mul_f64 v[144:145], v[166:167], s[18:19]
	v_add_f64 v[134:135], v[134:135], v[126:127]
	v_fma_f64 v[126:127], v[166:167], s[14:15], -v[118:119]
	v_mul_f64 v[104:105], v[132:133], s[28:29]
	v_mul_f64 v[172:173], v[120:121], s[34:35]
	v_add_f64 v[136:137], v[138:139], v[136:137]
	v_add_f64 v[138:139], v[140:141], v[124:125]
	v_mul_f64 v[146:147], v[122:123], s[4:5]
	v_fma_f64 v[140:141], v[120:121], s[26:27], v[144:145]
	v_add_f64 v[156:157], v[46:47], -v[30:31]
	v_add_f64 v[126:127], v[0:1], v[126:127]
	v_fma_f64 v[150:151], v[122:123], s[10:11], -v[104:105]
	v_fma_f64 v[124:125], v[166:167], s[10:11], -v[172:173]
	v_mul_f64 v[148:149], v[132:133], s[2:3]
	v_fma_f64 v[144:145], v[120:121], s[38:39], v[144:145]
	v_fma_f64 v[160:161], v[132:133], s[40:41], v[146:147]
	v_add_f64 v[140:141], v[0:1], v[140:141]
	v_add_f64 v[154:155], v[28:29], v[44:45]
	v_mul_f64 v[120:121], v[156:157], s[36:37]
	v_add_f64 v[162:163], v[150:151], v[126:127]
	v_mul_f64 v[126:127], v[156:157], s[24:25]
	v_add_f64 v[152:153], v[0:1], v[124:125]
	v_fma_f64 v[158:159], v[122:123], s[16:17], -v[148:149]
	v_mul_f64 v[124:125], v[156:157], s[38:39]
	v_fma_f64 v[132:133], v[132:133], s[22:23], v[146:147]
	v_add_f64 v[144:145], v[0:1], v[144:145]
	v_add_f64 v[140:141], v[160:161], v[140:141]
	v_mul_f64 v[146:147], v[156:157], s[22:23]
	v_fma_f64 v[164:165], v[154:155], s[14:15], -v[126:127]
	v_mul_f64 v[160:161], v[156:157], s[42:43]
	v_add_f64 v[174:175], v[50:51], -v[22:23]
	v_add_f64 v[158:159], v[158:159], v[152:153]
	v_fma_f64 v[150:151], v[154:155], s[16:17], -v[120:121]
	v_fma_f64 v[152:153], v[154:155], s[18:19], -v[124:125]
	v_mul_f64 v[170:171], v[154:155], s[10:11]
	v_add_f64 v[132:133], v[132:133], v[144:145]
	v_fma_f64 v[176:177], v[154:155], s[4:5], -v[146:147]
	v_add_f64 v[138:139], v[164:165], v[138:139]
	v_fma_f64 v[164:165], v[154:155], s[6:7], -v[160:161]
	v_add_f64 v[168:169], v[20:21], v[48:49]
	v_mul_f64 v[144:145], v[174:175], s[30:31]
	v_add_f64 v[134:135], v[150:151], v[134:135]
	v_add_f64 v[136:137], v[152:153], v[136:137]
	v_fma_f64 v[178:179], v[156:157], s[28:29], v[170:171]
	v_mul_f64 v[150:151], v[174:175], s[28:29]
	v_mul_f64 v[152:153], v[174:175], s[22:23]
	v_add_f64 v[182:183], v[176:177], v[162:163]
	v_fma_f64 v[156:157], v[156:157], s[34:35], v[170:171]
	v_add_f64 v[170:171], v[164:165], v[158:159]
	v_mul_f64 v[162:163], v[174:175], s[36:37]
	v_fma_f64 v[158:159], v[168:169], s[14:15], -v[144:145]
	v_add_f64 v[188:189], v[38:39], -v[18:19]
	v_add_f64 v[140:141], v[178:179], v[140:141]
	v_fma_f64 v[164:165], v[168:169], s[10:11], -v[150:151]
	v_fma_f64 v[178:179], v[168:169], s[4:5], -v[152:153]
	v_mul_f64 v[176:177], v[174:175], s[26:27]
	v_mul_f64 v[186:187], v[168:169], s[6:7]
	v_fma_f64 v[184:185], v[168:169], s[16:17], -v[162:163]
	v_add_f64 v[134:135], v[158:159], v[134:135]
	v_add_f64 v[180:181], v[16:17], v[36:37]
	v_mul_f64 v[158:159], v[188:189], s[2:3]
	v_add_f64 v[132:133], v[156:157], v[132:133]
	v_add_f64 v[136:137], v[164:165], v[136:137]
	;; [unrolled: 1-line block ×3, first 2 shown]
	v_fma_f64 v[178:179], v[168:169], s[18:19], -v[176:177]
	v_mul_f64 v[156:157], v[188:189], s[34:35]
	v_add_f64 v[190:191], v[184:185], v[182:183]
	v_fma_f64 v[213:214], v[174:175], s[42:43], v[186:187]
	v_mul_f64 v[164:165], v[188:189], s[42:43]
	v_mul_f64 v[182:183], v[188:189], s[26:27]
	v_fma_f64 v[174:175], v[174:175], s[20:21], v[186:187]
	v_mul_f64 v[184:185], v[188:189], s[22:23]
	v_fma_f64 v[186:187], v[180:181], s[16:17], -v[158:159]
	v_add_f64 v[170:171], v[178:179], v[170:171]
	v_fma_f64 v[178:179], v[180:181], s[10:11], -v[156:157]
	v_add_f64 v[140:141], v[213:214], v[140:141]
	v_fma_f64 v[213:214], v[180:181], s[6:7], -v[164:165]
	v_fma_f64 v[215:216], v[180:181], s[18:19], -v[182:183]
	v_mul_f64 v[217:218], v[180:181], s[14:15]
	v_add_f64 v[132:133], v[174:175], v[132:133]
	v_fma_f64 v[174:175], v[180:181], s[4:5], -v[184:185]
	v_add_f64 v[219:220], v[26:27], -v[14:15]
	v_add_f64 v[136:137], v[186:187], v[136:137]
	v_add_f64 v[186:187], v[12:13], v[24:25]
	;; [unrolled: 1-line block ×5, first 2 shown]
	v_fma_f64 v[215:216], v[188:189], s[24:25], v[217:218]
	v_fma_f64 v[217:218], v[188:189], s[30:31], v[217:218]
	v_add_f64 v[221:222], v[174:175], v[170:171]
	v_mul_f64 v[170:171], v[219:220], s[38:39]
	v_mul_f64 v[174:175], v[219:220], s[22:23]
	;; [unrolled: 1-line block ×6, first 2 shown]
	v_add_f64 v[215:216], v[215:216], v[140:141]
	v_add_f64 v[132:133], v[217:218], v[132:133]
	v_fma_f64 v[140:141], v[186:187], s[18:19], -v[170:171]
	v_fma_f64 v[217:218], v[186:187], s[4:5], -v[174:175]
	;; [unrolled: 1-line block ×5, first 2 shown]
	v_fma_f64 v[231:232], v[219:220], s[36:37], v[223:224]
	v_fma_f64 v[219:220], v[219:220], s[2:3], v[223:224]
	v_add_f64 v[223:224], v[142:143], v[80:81]
	v_add_f64 v[80:81], v[140:141], v[134:135]
	;; [unrolled: 1-line block ×8, first 2 shown]
	v_cmp_gt_u32_e64 s[2:3], 14, v128
	ds_write2_b64 v192, v[203:204], v[205:206] offset0:2 offset1:3
	ds_write2_b64 v192, v[207:208], v[209:210] offset0:4 offset1:5
	;; [unrolled: 1-line block ×5, first 2 shown]
	ds_write_b64 v192, v[223:224] offset:96
	s_and_saveexec_b64 s[20:21], s[2:3]
	s_cbranch_execz .LBB0_15
; %bb.14:
	v_mul_f64 v[193:194], v[166:167], s[10:11]
	v_mul_f64 v[205:206], v[122:123], s[16:17]
	;; [unrolled: 1-line block ×8, first 2 shown]
	v_add_f64 v[172:173], v[172:173], v[193:194]
	v_add_f64 v[193:194], v[32:33], v[0:1]
	;; [unrolled: 1-line block ×4, first 2 shown]
	v_mul_f64 v[203:204], v[122:123], s[14:15]
	v_mul_f64 v[207:208], v[122:123], s[18:19]
	;; [unrolled: 1-line block ×3, first 2 shown]
	v_add_f64 v[118:119], v[118:119], v[166:167]
	v_add_f64 v[172:173], v[0:1], v[172:173]
	;; [unrolled: 1-line block ×6, first 2 shown]
	v_mul_f64 v[209:210], v[154:155], s[16:17]
	v_add_f64 v[104:105], v[104:105], v[122:123]
	v_mul_f64 v[211:212], v[154:155], s[18:19]
	v_add_f64 v[148:149], v[148:149], v[172:173]
	v_add_f64 v[172:173], v[44:45], v[193:194]
	v_mul_f64 v[205:206], v[154:155], s[14:15]
	v_mul_f64 v[154:155], v[154:155], s[4:5]
	v_add_f64 v[118:119], v[0:1], v[118:119]
	v_add_f64 v[116:117], v[116:117], v[207:208]
	;; [unrolled: 1-line block ×9, first 2 shown]
	v_mul_f64 v[215:216], v[168:169], s[14:15]
	v_mul_f64 v[217:218], v[168:169], s[10:11]
	;; [unrolled: 1-line block ×4, first 2 shown]
	v_add_f64 v[160:161], v[36:37], v[160:161]
	v_mul_f64 v[168:169], v[168:169], s[16:17]
	v_add_f64 v[146:147], v[146:147], v[154:155]
	v_add_f64 v[104:105], v[104:105], v[118:119]
	;; [unrolled: 1-line block ×9, first 2 shown]
	v_mul_f64 v[213:214], v[180:181], s[10:11]
	v_mul_f64 v[221:222], v[180:181], s[16:17]
	;; [unrolled: 1-line block ×3, first 2 shown]
	v_add_f64 v[176:177], v[176:177], v[219:220]
	v_mul_f64 v[172:173], v[180:181], s[6:7]
	v_add_f64 v[122:123], v[12:13], v[160:161]
	v_mul_f64 v[180:181], v[180:181], s[18:19]
	v_add_f64 v[162:163], v[162:163], v[168:169]
	v_add_f64 v[104:105], v[146:147], v[104:105]
	;; [unrolled: 1-line block ×8, first 2 shown]
	v_mul_f64 v[219:220], v[186:187], s[14:15]
	v_mul_f64 v[225:226], v[186:187], s[6:7]
	v_add_f64 v[184:185], v[184:185], v[223:224]
	v_add_f64 v[148:149], v[176:177], v[148:149]
	;; [unrolled: 1-line block ×6, first 2 shown]
	v_mul_f64 v[227:228], v[186:187], s[18:19]
	v_mul_f64 v[176:177], v[186:187], s[4:5]
	;; [unrolled: 1-line block ×3, first 2 shown]
	v_add_f64 v[112:113], v[164:165], v[172:173]
	v_add_f64 v[110:111], v[118:119], v[110:111]
	;; [unrolled: 1-line block ×23, first 2 shown]
	v_add_u32_e32 v112, 0x24f8, v192
	v_add_f64 v[0:1], v[114:115], v[0:1]
	ds_write2_b64 v112, v[106:107], v[80:81] offset1:1
	v_add_u32_e32 v106, 0x2508, v192
	ds_write2_b64 v106, v[142:143], v[140:141] offset1:1
	v_add_u32_e32 v106, 0x2518, v192
	;; [unrolled: 2-line block ×5, first 2 shown]
	ds_write2_b64 v104, v[108:109], v[110:111] offset1:1
	ds_write_b64 v192, v[0:1] offset:9560
.LBB0_15:
	s_or_b64 exec, exec, s[20:21]
	v_lshlrev_b32_e32 v161, 3, v129
	v_lshlrev_b32_e32 v0, 3, v128
	v_add3_u32 v160, 0, v0, v161
	v_add3_u32 v129, 0, v161, v0
	v_add_u32_e32 v0, 0x800, v160
	s_waitcnt lgkmcnt(0)
	s_barrier
	ds_read2_b64 v[108:111], v0 offset0:30 offset1:134
	v_add_u32_e32 v0, 0xc00, v160
	ds_read2_b64 v[112:115], v0 offset0:97 offset1:201
	v_add_u32_e32 v0, 0x1400, v160
	;; [unrolled: 2-line block ×4, first 2 shown]
	ds_read2_b64 v[104:107], v160 offset0:91 offset1:195
	ds_read2_b64 v[124:127], v0 offset0:42 offset1:146
	ds_read_b64 v[144:145], v129
	ds_read_b64 v[146:147], v160 offset:10088
	v_cmp_gt_u32_e32 vcc, 13, v128
	s_and_saveexec_b64 s[4:5], vcc
	s_cbranch_execz .LBB0_17
; %bb.16:
	v_add_u32_e32 v1, 0x1e00, v160
	ds_read2_b64 v[136:139], v1 offset0:2 offset1:197
	v_add_u32_e32 v1, 0x1000, v160
	v_add_u32_e32 v0, 0x400, v160
	ds_read2_b64 v[140:143], v1 offset0:60 offset1:255
	ds_read2_b64 v[148:151], v0 offset0:54 offset1:249
	ds_read_b64 v[132:133], v160 offset:10816
	s_waitcnt lgkmcnt(3)
	v_mov_b32_e32 v134, v138
	v_mov_b32_e32 v135, v139
	s_waitcnt lgkmcnt(2)
	v_mov_b32_e32 v138, v142
	v_mov_b32_e32 v139, v143
	;; [unrolled: 3-line block ×3, first 2 shown]
	v_mov_b32_e32 v143, v151
	v_mov_b32_e32 v81, v149
.LBB0_17:
	s_or_b64 exec, exec, s[4:5]
	v_add_f64 v[0:1], v[102:103], v[82:83]
	v_add_f64 v[88:89], v[100:101], -v[88:89]
	s_mov_b32 s22, 0x42a4c3d2
	s_mov_b32 s23, 0xbfea55e2
	v_add_f64 v[102:103], v[90:91], v[102:103]
	v_add_f64 v[92:93], v[96:97], -v[92:93]
	s_mov_b32 s4, 0x1ea71119
	s_mov_b32 s28, 0x66966769
	v_add_f64 v[0:1], v[98:99], v[0:1]
	v_mul_f64 v[100:101], v[88:89], s[22:23]
	s_mov_b32 s20, 0x2ef20147
	s_mov_b32 s5, 0x3fe22d96
	;; [unrolled: 1-line block ×4, first 2 shown]
	v_add_f64 v[98:99], v[94:95], v[98:99]
	v_mul_f64 v[148:149], v[88:89], s[28:29]
	v_add_f64 v[0:1], v[78:79], v[0:1]
	v_mul_f64 v[150:151], v[88:89], s[20:21]
	v_mul_f64 v[156:157], v[92:93], s[20:21]
	v_fma_f64 v[168:169], v[102:103], s[4:5], v[100:101]
	v_fma_f64 v[100:101], v[102:103], s[4:5], -v[100:101]
	s_mov_b32 s36, 0x4267c47c
	s_mov_b32 s10, 0xb2365da1
	;; [unrolled: 1-line block ×3, first 2 shown]
	v_add_f64 v[0:1], v[70:71], v[0:1]
	s_mov_b32 s26, 0x4bc48dbf
	s_mov_b32 s37, 0xbfddbe06
	;; [unrolled: 1-line block ×7, first 2 shown]
	v_add_f64 v[0:1], v[62:63], v[0:1]
	v_mul_f64 v[96:97], v[88:89], s[36:37]
	v_mul_f64 v[152:153], v[88:89], s[24:25]
	v_mul_f64 v[88:89], v[88:89], s[26:27]
	v_mul_f64 v[158:159], v[92:93], s[26:27]
	v_mul_f64 v[162:163], v[92:93], s[34:35]
	v_fma_f64 v[170:171], v[102:103], s[16:17], v[148:149]
	v_fma_f64 v[148:149], v[102:103], s[16:17], -v[148:149]
	v_add_f64 v[0:1], v[54:55], v[0:1]
	v_fma_f64 v[172:173], v[102:103], s[10:11], v[150:151]
	v_fma_f64 v[178:179], v[98:99], s[10:11], v[156:157]
	v_fma_f64 v[156:157], v[98:99], s[10:11], -v[156:157]
	v_add_f64 v[100:101], v[82:83], v[100:101]
	s_mov_b32 s6, 0xe00740e9
	s_mov_b32 s14, 0xd0032e0c
	;; [unrolled: 1-line block ×3, first 2 shown]
	v_add_f64 v[0:1], v[58:59], v[0:1]
	s_mov_b32 s15, 0xbfe7f3cc
	s_mov_b32 s31, 0x3fefc445
	;; [unrolled: 1-line block ×5, first 2 shown]
	v_mul_f64 v[154:155], v[92:93], s[22:23]
	v_mul_f64 v[164:165], v[92:93], s[30:31]
	v_add_f64 v[0:1], v[66:67], v[0:1]
	v_fma_f64 v[166:167], v[102:103], s[6:7], v[96:97]
	v_fma_f64 v[96:97], v[102:103], s[6:7], -v[96:97]
	v_fma_f64 v[150:151], v[102:103], s[10:11], -v[150:151]
	v_fma_f64 v[174:175], v[102:103], s[14:15], v[152:153]
	v_fma_f64 v[152:153], v[102:103], s[14:15], -v[152:153]
	v_fma_f64 v[176:177], v[102:103], s[18:19], v[88:89]
	v_fma_f64 v[88:89], v[102:103], s[18:19], -v[88:89]
	v_add_f64 v[0:1], v[74:75], v[0:1]
	v_add_f64 v[148:149], v[82:83], v[148:149]
	;; [unrolled: 1-line block ×4, first 2 shown]
	v_fma_f64 v[156:157], v[98:99], s[14:15], v[162:163]
	v_add_f64 v[76:77], v[76:77], -v[84:85]
	v_mul_f64 v[92:93], v[92:93], s[38:39]
	v_fma_f64 v[102:103], v[98:99], s[4:5], v[154:155]
	v_add_f64 v[0:1], v[86:87], v[0:1]
	v_fma_f64 v[154:155], v[98:99], s[4:5], -v[154:155]
	v_add_f64 v[166:167], v[82:83], v[166:167]
	v_add_f64 v[96:97], v[82:83], v[96:97]
	v_add_f64 v[168:169], v[82:83], v[168:169]
	v_add_f64 v[170:171], v[82:83], v[170:171]
	v_add_f64 v[150:151], v[82:83], v[150:151]
	v_add_f64 v[174:175], v[82:83], v[174:175]
	v_add_f64 v[0:1], v[94:95], v[0:1]
	v_add_f64 v[152:153], v[82:83], v[152:153]
	v_add_f64 v[94:95], v[82:83], v[176:177]
	v_add_f64 v[82:83], v[82:83], v[88:89]
	v_fma_f64 v[84:85], v[98:99], s[14:15], -v[162:163]
	v_fma_f64 v[162:163], v[98:99], s[16:17], -v[164:165]
	v_add_f64 v[78:79], v[86:87], v[78:79]
	v_mul_f64 v[86:87], v[76:77], s[28:29]
	v_add_f64 v[0:1], v[90:91], v[0:1]
	v_fma_f64 v[90:91], v[98:99], s[18:19], -v[158:159]
	s_mov_b32 s43, 0x3fedeba7
	s_mov_b32 s42, s20
	v_fma_f64 v[180:181], v[98:99], s[18:19], v[158:159]
	v_add_f64 v[88:89], v[102:103], v[166:167]
	v_add_f64 v[96:97], v[154:155], v[96:97]
	v_fma_f64 v[158:159], v[98:99], s[16:17], v[164:165]
	v_add_f64 v[152:153], v[162:163], v[152:153]
	v_add_f64 v[90:91], v[90:91], v[148:149]
	;; [unrolled: 1-line block ×3, first 2 shown]
	v_fma_f64 v[156:157], v[98:99], s[6:7], v[92:93]
	v_fma_f64 v[92:93], v[98:99], s[6:7], -v[92:93]
	v_fma_f64 v[98:99], v[78:79], s[16:17], v[86:87]
	v_fma_f64 v[86:87], v[78:79], s[16:17], -v[86:87]
	v_mul_f64 v[162:163], v[76:77], s[42:43]
	v_add_f64 v[154:155], v[180:181], v[170:171]
	v_add_f64 v[84:85], v[84:85], v[150:151]
	;; [unrolled: 1-line block ×3, first 2 shown]
	v_mul_f64 v[158:159], v[76:77], s[26:27]
	v_add_f64 v[82:83], v[92:93], v[82:83]
	v_mul_f64 v[92:93], v[76:77], s[38:39]
	v_add_f64 v[88:89], v[98:99], v[88:89]
	v_add_f64 v[86:87], v[86:87], v[96:97]
	v_fma_f64 v[96:97], v[78:79], s[10:11], v[162:163]
	v_fma_f64 v[98:99], v[78:79], s[10:11], -v[162:163]
	v_mul_f64 v[162:163], v[76:77], s[22:23]
	v_add_f64 v[68:69], v[68:69], -v[72:73]
	v_mul_f64 v[76:77], v[76:77], s[24:25]
	v_fma_f64 v[164:165], v[78:79], s[6:7], v[92:93]
	v_fma_f64 v[72:73], v[78:79], s[6:7], -v[92:93]
	v_add_f64 v[102:103], v[178:179], v[168:169]
	v_add_f64 v[94:95], v[156:157], v[94:95]
	v_fma_f64 v[156:157], v[78:79], s[18:19], v[158:159]
	v_fma_f64 v[158:159], v[78:79], s[18:19], -v[158:159]
	v_add_f64 v[92:93], v[96:97], v[154:155]
	v_add_f64 v[90:91], v[98:99], v[90:91]
	v_fma_f64 v[96:97], v[78:79], s[4:5], v[162:163]
	v_add_f64 v[98:99], v[164:165], v[148:149]
	v_add_f64 v[70:71], v[74:75], v[70:71]
	v_mul_f64 v[74:75], v[68:69], s[20:21]
	v_add_f64 v[72:73], v[72:73], v[84:85]
	v_fma_f64 v[84:85], v[78:79], s[4:5], -v[162:163]
	v_mul_f64 v[148:149], v[68:69], s[34:35]
	v_fma_f64 v[154:155], v[78:79], s[14:15], v[76:77]
	v_fma_f64 v[76:77], v[78:79], s[14:15], -v[76:77]
	v_add_f64 v[102:103], v[156:157], v[102:103]
	v_add_f64 v[100:101], v[158:159], v[100:101]
	;; [unrolled: 1-line block ×3, first 2 shown]
	v_mul_f64 v[150:151], v[68:69], s[38:39]
	v_fma_f64 v[78:79], v[70:71], s[10:11], v[74:75]
	v_fma_f64 v[74:75], v[70:71], s[10:11], -v[74:75]
	v_add_f64 v[84:85], v[84:85], v[152:153]
	v_fma_f64 v[152:153], v[70:71], s[14:15], v[148:149]
	v_fma_f64 v[148:149], v[70:71], s[14:15], -v[148:149]
	v_add_f64 v[76:77], v[76:77], v[82:83]
	v_mul_f64 v[82:83], v[68:69], s[28:29]
	s_mov_b32 s45, 0x3fcea1e5
	s_mov_b32 s44, s26
	;; [unrolled: 1-line block ×4, first 2 shown]
	v_add_f64 v[78:79], v[78:79], v[88:89]
	v_add_f64 v[74:75], v[74:75], v[86:87]
	;; [unrolled: 1-line block ×4, first 2 shown]
	v_fma_f64 v[100:101], v[70:71], s[6:7], -v[150:151]
	v_mul_f64 v[102:103], v[68:69], s[44:45]
	v_add_f64 v[60:61], v[60:61], -v[64:65]
	v_mul_f64 v[64:65], v[68:69], s[40:41]
	v_fma_f64 v[68:69], v[70:71], s[16:17], -v[82:83]
	v_fma_f64 v[148:149], v[70:71], s[16:17], v[82:83]
	v_add_f64 v[62:63], v[66:67], v[62:63]
	v_fma_f64 v[156:157], v[70:71], s[6:7], v[150:151]
	v_add_f64 v[82:83], v[100:101], v[90:91]
	v_fma_f64 v[90:91], v[70:71], s[18:19], v[102:103]
	v_mul_f64 v[66:67], v[60:61], s[24:25]
	v_fma_f64 v[100:101], v[70:71], s[18:19], -v[102:103]
	v_add_f64 v[68:69], v[68:69], v[72:73]
	v_mul_f64 v[72:73], v[60:61], s[30:31]
	v_fma_f64 v[102:103], v[70:71], s[4:5], v[64:65]
	v_fma_f64 v[64:65], v[70:71], s[4:5], -v[64:65]
	v_add_f64 v[92:93], v[156:157], v[92:93]
	v_add_f64 v[70:71], v[90:91], v[96:97]
	v_fma_f64 v[90:91], v[62:63], s[14:15], v[66:67]
	v_add_f64 v[84:85], v[100:101], v[84:85]
	v_mul_f64 v[96:97], v[60:61], s[22:23]
	v_fma_f64 v[66:67], v[62:63], s[14:15], -v[66:67]
	v_fma_f64 v[100:101], v[62:63], s[16:17], v[72:73]
	v_add_f64 v[64:65], v[64:65], v[76:77]
	v_fma_f64 v[72:73], v[62:63], s[16:17], -v[72:73]
	v_add_f64 v[52:53], v[52:53], -v[56:57]
	v_add_f64 v[76:77], v[90:91], v[78:79]
	v_mul_f64 v[78:79], v[60:61], s[44:45]
	v_fma_f64 v[90:91], v[62:63], s[4:5], v[96:97]
	v_add_f64 v[66:67], v[66:67], v[74:75]
	v_add_f64 v[74:75], v[100:101], v[86:87]
	v_mul_f64 v[86:87], v[60:61], s[38:39]
	v_fma_f64 v[96:97], v[62:63], s[4:5], -v[96:97]
	v_add_f64 v[72:73], v[72:73], v[88:89]
	v_mul_f64 v[60:61], v[60:61], s[20:21]
	v_fma_f64 v[56:57], v[62:63], s[18:19], v[78:79]
	v_add_f64 v[88:89], v[90:91], v[92:93]
	v_add_f64 v[92:93], v[58:59], v[54:55]
	v_mul_f64 v[54:55], v[52:53], s[26:27]
	v_fma_f64 v[90:91], v[62:63], s[6:7], v[86:87]
	v_add_f64 v[82:83], v[96:97], v[82:83]
	v_fma_f64 v[78:79], v[62:63], s[18:19], -v[78:79]
	v_fma_f64 v[58:59], v[62:63], s[6:7], -v[86:87]
	v_mul_f64 v[86:87], v[52:53], s[38:39]
	v_fma_f64 v[96:97], v[62:63], s[10:11], v[60:61]
	v_fma_f64 v[60:61], v[62:63], s[10:11], -v[60:61]
	v_add_f64 v[94:95], v[154:155], v[94:95]
	v_add_f64 v[62:63], v[90:91], v[70:71]
	v_fma_f64 v[70:71], v[92:93], s[18:19], v[54:55]
	v_fma_f64 v[54:55], v[92:93], s[18:19], -v[54:55]
	v_add_f64 v[98:99], v[148:149], v[98:99]
	v_add_f64 v[68:69], v[78:79], v[68:69]
	v_fma_f64 v[78:79], v[92:93], s[6:7], v[86:87]
	v_fma_f64 v[86:87], v[92:93], s[6:7], -v[86:87]
	v_add_f64 v[162:163], v[60:61], v[64:65]
	v_mul_f64 v[60:61], v[52:53], s[24:25]
	v_mul_f64 v[64:65], v[52:53], s[20:21]
	v_add_f64 v[166:167], v[54:55], v[66:67]
	v_mul_f64 v[54:55], v[52:53], s[40:41]
	v_add_f64 v[32:33], v[32:33], -v[4:5]
	v_add_f64 v[94:95], v[102:103], v[94:95]
	v_add_f64 v[56:57], v[56:57], v[98:99]
	;; [unrolled: 1-line block ×6, first 2 shown]
	v_mul_f64 v[52:53], v[52:53], s[30:31]
	v_fma_f64 v[66:67], v[92:93], s[14:15], v[60:61]
	v_fma_f64 v[60:61], v[92:93], s[14:15], -v[60:61]
	v_fma_f64 v[70:71], v[92:93], s[4:5], v[54:55]
	v_fma_f64 v[54:55], v[92:93], s[4:5], -v[54:55]
	;; [unrolled: 2-line block ×3, first 2 shown]
	v_add_f64 v[64:65], v[6:7], v[34:35]
	v_mul_f64 v[4:5], v[32:33], s[36:37]
	v_add_f64 v[84:85], v[96:97], v[94:95]
	v_fma_f64 v[76:77], v[92:93], s[16:17], v[52:53]
	v_add_f64 v[174:175], v[60:61], v[82:83]
	v_add_f64 v[176:177], v[70:71], v[56:57]
	;; [unrolled: 1-line block ×5, first 2 shown]
	v_fma_f64 v[62:63], v[64:65], s[6:7], v[4:5]
	v_mul_f64 v[54:55], v[32:33], s[22:23]
	v_mul_f64 v[56:57], v[32:33], s[28:29]
	;; [unrolled: 1-line block ×5, first 2 shown]
	v_add_f64 v[40:41], v[40:41], -v[8:9]
	v_add_f64 v[172:173], v[66:67], v[88:89]
	v_add_f64 v[184:185], v[76:77], v[84:85]
	v_add_f64 v[72:73], v[2:3], v[62:63]
	v_fma_f64 v[66:67], v[64:65], s[4:5], v[54:55]
	v_fma_f64 v[68:69], v[64:65], s[16:17], v[56:57]
	;; [unrolled: 1-line block ×5, first 2 shown]
	v_add_f64 v[84:85], v[10:11], v[42:43]
	v_mul_f64 v[8:9], v[40:41], s[22:23]
	v_mul_f64 v[62:63], v[40:41], s[20:21]
	v_add_f64 v[78:79], v[2:3], v[66:67]
	v_add_f64 v[82:83], v[2:3], v[68:69]
	;; [unrolled: 1-line block ×4, first 2 shown]
	v_fma_f64 v[32:33], v[64:65], s[18:19], -v[32:33]
	v_add_f64 v[90:91], v[2:3], v[76:77]
	v_fma_f64 v[74:75], v[84:85], s[4:5], v[8:9]
	v_fma_f64 v[76:77], v[84:85], s[10:11], v[62:63]
	v_mul_f64 v[66:67], v[40:41], s[26:27]
	v_mul_f64 v[68:69], v[40:41], s[34:35]
	v_mul_f64 v[70:71], v[40:41], s[30:31]
	v_mul_f64 v[40:41], v[40:41], s[38:39]
	v_add_f64 v[28:29], v[44:45], -v[28:29]
	v_fma_f64 v[52:53], v[92:93], s[16:17], -v[52:53]
	v_add_f64 v[32:33], v[2:3], v[32:33]
	v_add_f64 v[44:45], v[74:75], v[72:73]
	;; [unrolled: 1-line block ×3, first 2 shown]
	v_fma_f64 v[78:79], v[84:85], s[18:19], v[66:67]
	v_fma_f64 v[94:95], v[84:85], s[14:15], v[68:69]
	;; [unrolled: 1-line block ×4, first 2 shown]
	v_add_f64 v[102:103], v[30:31], v[46:47]
	v_mul_f64 v[72:73], v[28:29], s[28:29]
	v_mul_f64 v[74:75], v[28:29], s[26:27]
	;; [unrolled: 1-line block ×3, first 2 shown]
	v_fma_f64 v[40:41], v[84:85], s[6:7], -v[40:41]
	v_add_f64 v[100:101], v[78:79], v[82:83]
	v_add_f64 v[94:95], v[94:95], v[86:87]
	;; [unrolled: 1-line block ×4, first 2 shown]
	v_fma_f64 v[86:87], v[102:103], s[16:17], v[72:73]
	v_fma_f64 v[88:89], v[102:103], s[18:19], v[74:75]
	;; [unrolled: 1-line block ×3, first 2 shown]
	v_mul_f64 v[78:79], v[28:29], s[38:39]
	v_mul_f64 v[82:83], v[28:29], s[22:23]
	;; [unrolled: 1-line block ×3, first 2 shown]
	v_add_f64 v[32:33], v[40:41], v[32:33]
	v_add_f64 v[40:41], v[48:49], -v[20:21]
	v_add_f64 v[44:45], v[86:87], v[44:45]
	v_add_f64 v[48:49], v[88:89], v[92:93]
	;; [unrolled: 1-line block ×3, first 2 shown]
	v_fma_f64 v[100:101], v[102:103], s[6:7], v[78:79]
	v_fma_f64 v[148:149], v[102:103], s[4:5], v[82:83]
	;; [unrolled: 1-line block ×3, first 2 shown]
	v_add_f64 v[156:157], v[22:23], v[50:51]
	v_mul_f64 v[92:93], v[40:41], s[20:21]
	v_mul_f64 v[86:87], v[40:41], s[34:35]
	;; [unrolled: 1-line block ×4, first 2 shown]
	v_fma_f64 v[28:29], v[102:103], s[14:15], -v[28:29]
	v_add_f64 v[94:95], v[100:101], v[94:95]
	v_add_f64 v[148:149], v[148:149], v[96:97]
	;; [unrolled: 1-line block ×3, first 2 shown]
	v_fma_f64 v[96:97], v[156:157], s[10:11], v[92:93]
	v_fma_f64 v[100:101], v[156:157], s[14:15], v[86:87]
	;; [unrolled: 1-line block ×4, first 2 shown]
	v_mul_f64 v[90:91], v[40:41], s[44:45]
	v_add_f64 v[28:29], v[28:29], v[32:33]
	v_add_f64 v[32:33], v[36:37], -v[16:17]
	v_mul_f64 v[36:37], v[40:41], s[40:41]
	v_add_f64 v[40:41], v[96:97], v[44:45]
	v_add_f64 v[44:45], v[100:101], v[48:49]
	;; [unrolled: 1-line block ×4, first 2 shown]
	v_fma_f64 v[154:155], v[156:157], s[18:19], v[90:91]
	v_add_f64 v[158:159], v[18:19], v[38:39]
	v_mul_f64 v[16:17], v[32:33], s[24:25]
	v_fma_f64 v[186:187], v[156:157], s[4:5], v[36:37]
	v_mul_f64 v[94:95], v[32:33], s[30:31]
	v_mul_f64 v[96:97], v[32:33], s[22:23]
	v_mul_f64 v[98:99], v[32:33], s[44:45]
	v_mul_f64 v[100:101], v[32:33], s[38:39]
	v_add_f64 v[148:149], v[154:155], v[148:149]
	v_fma_f64 v[36:37], v[156:157], s[4:5], -v[36:37]
	v_fma_f64 v[154:155], v[158:159], s[14:15], v[16:17]
	v_add_f64 v[186:187], v[186:187], v[150:151]
	v_fma_f64 v[150:151], v[158:159], s[16:17], v[94:95]
	v_fma_f64 v[188:189], v[158:159], s[4:5], v[96:97]
	;; [unrolled: 1-line block ×4, first 2 shown]
	v_mul_f64 v[32:33], v[32:33], s[20:21]
	v_add_f64 v[28:29], v[36:37], v[28:29]
	v_add_f64 v[36:37], v[154:155], v[40:41]
	v_add_f64 v[40:41], v[24:25], -v[12:13]
	v_add_f64 v[44:45], v[150:151], v[44:45]
	v_add_f64 v[48:49], v[188:189], v[48:49]
	;; [unrolled: 1-line block ×4, first 2 shown]
	v_fma_f64 v[193:194], v[158:159], s[10:11], v[32:33]
	v_fma_f64 v[32:33], v[158:159], s[10:11], -v[32:33]
	v_add_f64 v[154:155], v[14:15], v[26:27]
	v_mul_f64 v[150:151], v[40:41], s[26:27]
	v_mul_f64 v[152:153], v[40:41], s[38:39]
	;; [unrolled: 1-line block ×6, first 2 shown]
	v_add_f64 v[186:187], v[193:194], v[186:187]
	v_add_f64 v[32:33], v[32:33], v[28:29]
	v_fma_f64 v[28:29], v[154:155], s[18:19], v[150:151]
	v_fma_f64 v[193:194], v[154:155], s[6:7], v[152:153]
	;; [unrolled: 1-line block ×6, first 2 shown]
	v_fma_f64 v[203:204], v[154:155], s[16:17], -v[40:41]
	v_add_f64 v[205:206], v[52:53], v[162:163]
	v_add_f64 v[28:29], v[28:29], v[36:37]
	;; [unrolled: 1-line block ×8, first 2 shown]
	v_add_u32_e32 v162, 0x5b, v128
	s_waitcnt lgkmcnt(0)
	s_barrier
	ds_write2_b64 v192, v[0:1], v[164:165] offset1:1
	ds_write2_b64 v192, v[168:169], v[172:173] offset0:2 offset1:3
	ds_write2_b64 v192, v[176:177], v[180:181] offset0:4 offset1:5
	;; [unrolled: 1-line block ×5, first 2 shown]
	ds_write_b64 v192, v[166:167] offset:96
	s_and_saveexec_b64 s[20:21], s[2:3]
	s_cbranch_execz .LBB0_19
; %bb.18:
	v_add_f64 v[0:1], v[34:35], v[2:3]
	v_mul_f64 v[34:35], v[64:65], s[6:7]
	v_mul_f64 v[163:164], v[64:65], s[4:5]
	;; [unrolled: 1-line block ×7, first 2 shown]
	v_add_f64 v[0:1], v[42:43], v[0:1]
	v_mul_f64 v[42:43], v[84:85], s[18:19]
	v_mul_f64 v[173:174], v[84:85], s[14:15]
	;; [unrolled: 1-line block ×3, first 2 shown]
	v_add_f64 v[4:5], v[34:35], -v[4:5]
	v_add_f64 v[34:35], v[163:164], -v[54:55]
	v_add_f64 v[54:55], v[167:168], -v[58:59]
	v_mul_f64 v[177:178], v[102:103], s[18:19]
	v_add_f64 v[0:1], v[46:47], v[0:1]
	v_mul_f64 v[179:180], v[102:103], s[10:11]
	v_mul_f64 v[181:182], v[102:103], s[6:7]
	;; [unrolled: 1-line block ×3, first 2 shown]
	v_add_f64 v[8:9], v[169:170], -v[8:9]
	v_add_f64 v[58:59], v[171:172], -v[62:63]
	v_add_f64 v[42:43], v[42:43], -v[66:67]
	v_add_f64 v[4:5], v[2:3], v[4:5]
	v_add_f64 v[0:1], v[50:51], v[0:1]
	v_mul_f64 v[175:176], v[102:103], s[16:17]
	v_mul_f64 v[102:103], v[156:157], s[10:11]
	;; [unrolled: 1-line block ×6, first 2 shown]
	v_add_f64 v[66:67], v[179:180], -v[76:77]
	v_add_f64 v[0:1], v[38:39], v[0:1]
	v_add_f64 v[38:39], v[165:166], -v[56:57]
	v_add_f64 v[56:57], v[64:65], -v[60:61]
	;; [unrolled: 1-line block ×6, first 2 shown]
	v_add_f64 v[4:5], v[8:9], v[4:5]
	v_add_f64 v[0:1], v[26:27], v[0:1]
	v_add_f64 v[26:27], v[84:85], -v[70:71]
	v_add_f64 v[62:63], v[175:176], -v[72:73]
	v_mul_f64 v[189:190], v[158:159], s[14:15]
	v_mul_f64 v[50:51], v[158:159], s[16:17]
	;; [unrolled: 1-line block ×5, first 2 shown]
	v_add_f64 v[0:1], v[14:15], v[0:1]
	v_add_f64 v[14:15], v[2:3], v[34:35]
	;; [unrolled: 1-line block ×5, first 2 shown]
	v_add_f64 v[54:55], v[183:184], -v[86:87]
	v_add_f64 v[56:57], v[185:186], -v[88:89]
	;; [unrolled: 1-line block ×3, first 2 shown]
	v_add_f64 v[0:1], v[18:19], v[0:1]
	v_add_f64 v[8:9], v[58:59], v[14:15]
	;; [unrolled: 1-line block ×5, first 2 shown]
	v_add_f64 v[26:27], v[156:157], -v[90:91]
	v_add_f64 v[70:71], v[102:103], -v[92:93]
	v_add_f64 v[4:5], v[62:63], v[4:5]
	v_add_f64 v[0:1], v[22:23], v[0:1]
	;; [unrolled: 1-line block ×6, first 2 shown]
	v_mul_f64 v[22:23], v[154:155], s[6:7]
	v_add_f64 v[38:39], v[158:159], -v[100:101]
	v_mul_f64 v[42:43], v[154:155], s[4:5]
	v_add_f64 v[0:1], v[30:31], v[0:1]
	v_add_f64 v[8:9], v[54:55], v[8:9]
	;; [unrolled: 1-line block ×5, first 2 shown]
	v_add_f64 v[20:21], v[50:51], -v[94:95]
	v_add_f64 v[26:27], v[191:192], -v[96:97]
	;; [unrolled: 1-line block ×3, first 2 shown]
	v_mul_f64 v[46:47], v[154:155], s[10:11]
	v_mul_f64 v[34:35], v[154:155], s[14:15]
	;; [unrolled: 1-line block ×3, first 2 shown]
	v_add_f64 v[4:5], v[70:71], v[4:5]
	v_add_f64 v[16:17], v[189:190], -v[16:17]
	v_add_f64 v[0:1], v[10:11], v[0:1]
	v_add_f64 v[8:9], v[20:21], v[8:9]
	;; [unrolled: 1-line block ×5, first 2 shown]
	v_add_f64 v[18:19], v[22:23], -v[152:153]
	v_add_f64 v[20:21], v[42:43], -v[148:149]
	;; [unrolled: 1-line block ×4, first 2 shown]
	v_add_f64 v[4:5], v[16:17], v[4:5]
	v_add_f64 v[16:17], v[195:196], -v[150:151]
	v_add_f64 v[0:1], v[6:7], v[0:1]
	v_add_f64 v[6:7], v[18:19], v[8:9]
	;; [unrolled: 1-line block ×5, first 2 shown]
	v_mul_u32_u24_e32 v12, 0x68, v162
	v_add_f64 v[4:5], v[16:17], v[4:5]
	v_add3_u32 v12, 0, v12, v161
	ds_write2_b64 v12, v[0:1], v[28:29] offset1:1
	ds_write2_b64 v12, v[52:53], v[48:49] offset0:2 offset1:3
	ds_write2_b64 v12, v[44:45], v[40:41] offset0:4 offset1:5
	ds_write2_b64 v12, v[36:37], v[32:33] offset0:6 offset1:7
	ds_write2_b64 v12, v[2:3], v[8:9] offset0:8 offset1:9
	ds_write2_b64 v12, v[10:11], v[6:7] offset0:10 offset1:11
	ds_write_b64 v12, v[4:5] offset:96
.LBB0_19:
	s_or_b64 exec, exec, s[20:21]
	v_add_u32_e32 v4, 0x800, v160
	v_add_u32_e32 v8, 0xc00, v160
	;; [unrolled: 1-line block ×5, first 2 shown]
	s_waitcnt lgkmcnt(0)
	s_barrier
	ds_read2_b64 v[0:3], v160 offset0:91 offset1:195
	ds_read2_b64 v[4:7], v4 offset0:30 offset1:134
	;; [unrolled: 1-line block ×6, first 2 shown]
	ds_read_b64 v[24:25], v129
	ds_read_b64 v[26:27], v160 offset:10088
	s_and_saveexec_b64 s[2:3], vcc
	s_cbranch_execz .LBB0_21
; %bb.20:
	v_add_u32_e32 v28, 0x1e00, v160
	ds_read2_b64 v[28:31], v28 offset0:2 offset1:197
	v_add_u32_e32 v32, 0x400, v160
	v_add_u32_e32 v33, 0x1000, v160
	ds_read2_b64 v[42:45], v33 offset0:60 offset1:255
	ds_read2_b64 v[50:53], v32 offset0:54 offset1:249
	ds_read_b64 v[32:33], v160 offset:10816
	s_waitcnt lgkmcnt(3)
	v_mov_b32_e32 v41, v29
	v_mov_b32_e32 v37, v31
	;; [unrolled: 1-line block ×3, first 2 shown]
	s_waitcnt lgkmcnt(2)
	v_mov_b32_e32 v49, v43
	s_waitcnt lgkmcnt(1)
	v_mov_b32_e32 v28, v50
	v_mov_b32_e32 v36, v30
	;; [unrolled: 1-line block ×4, first 2 shown]
.LBB0_21:
	s_or_b64 exec, exec, s[2:3]
	s_movk_i32 s2, 0x4f
	v_mul_lo_u16_sdwa v30, v128, s2 dst_sel:DWORD dst_unused:UNUSED_PAD src0_sel:BYTE_0 src1_sel:DWORD
	v_lshrrev_b16_e32 v205, 10, v30
	v_mul_lo_u16_e32 v30, 13, v205
	v_sub_u16_e32 v206, v128, v30
	v_mov_b32_e32 v30, 6
	v_mul_u32_u24_sdwa v31, v206, v30 dst_sel:DWORD dst_unused:UNUSED_PAD src0_sel:BYTE_0 src1_sel:DWORD
	v_lshlrev_b32_e32 v31, 4, v31
	global_load_dwordx4 v[54:57], v31, s[8:9] offset:16
	global_load_dwordx4 v[58:61], v31, s[8:9]
	global_load_dwordx4 v[70:73], v31, s[8:9] offset:48
	global_load_dwordx4 v[62:65], v31, s[8:9] offset:32
	;; [unrolled: 1-line block ×4, first 2 shown]
	v_mul_lo_u16_sdwa v31, v162, s2 dst_sel:DWORD dst_unused:UNUSED_PAD src0_sel:BYTE_0 src1_sel:DWORD
	v_lshrrev_b16_e32 v207, 10, v31
	v_mul_lo_u16_e32 v31, 13, v207
	v_sub_u16_e32 v208, v162, v31
	v_mul_u32_u24_sdwa v30, v208, v30 dst_sel:DWORD dst_unused:UNUSED_PAD src0_sel:BYTE_0 src1_sel:DWORD
	v_add_u32_e32 v82, 0xb6, v128
	v_lshlrev_b32_e32 v30, 4, v30
	s_movk_i32 s2, 0x4ec5
	global_load_dwordx4 v[87:90], v30, s[8:9] offset:16
	global_load_dwordx4 v[91:94], v30, s[8:9]
	global_load_dwordx4 v[95:98], v30, s[8:9] offset:48
	global_load_dwordx4 v[99:102], v30, s[8:9] offset:32
	global_load_dwordx4 v[148:151], v30, s[8:9] offset:80
	global_load_dwordx4 v[152:155], v30, s[8:9] offset:64
	v_mul_u32_u24_sdwa v30, v82, s2 dst_sel:DWORD dst_unused:UNUSED_PAD src0_sel:WORD_0 src1_sel:DWORD
	v_lshrrev_b32_e32 v30, 18, v30
	v_mul_lo_u16_e32 v30, 13, v30
	v_sub_u16_e32 v209, v82, v30
	v_mul_u32_u24_e32 v30, 6, v209
	v_lshlrev_b32_e32 v30, 4, v30
	global_load_dwordx4 v[156:159], v30, s[8:9]
	global_load_dwordx4 v[163:166], v30, s[8:9] offset:16
	global_load_dwordx4 v[167:170], v30, s[8:9] offset:32
	;; [unrolled: 1-line block ×5, first 2 shown]
	s_mov_b32 s4, 0x37e14327
	s_mov_b32 s2, 0x36b3c0b5
	;; [unrolled: 1-line block ×20, first 2 shown]
	s_movk_i32 s26, 0x2d8
	s_waitcnt vmcnt(0) lgkmcnt(0)
	s_barrier
	v_mul_f64 v[38:39], v[6:7], v[56:57]
	v_mul_f64 v[30:31], v[2:3], v[60:61]
	;; [unrolled: 1-line block ×12, first 2 shown]
	v_fma_f64 v[56:57], v[106:107], v[58:59], -v[30:31]
	v_fma_f64 v[66:67], v[2:3], v[58:59], v[34:35]
	v_fma_f64 v[58:59], v[110:111], v[54:55], -v[38:39]
	v_fma_f64 v[64:65], v[118:119], v[70:71], -v[64:65]
	v_fma_f64 v[70:71], v[14:15], v[70:71], v[72:73]
	v_fma_f64 v[72:73], v[122:123], v[74:75], -v[78:79]
	v_fma_f64 v[74:75], v[18:19], v[74:75], v[76:77]
	v_fma_f64 v[76:77], v[126:127], v[83:84], -v[183:184]
	v_mul_f64 v[185:186], v[4:5], v[93:94]
	v_mul_f64 v[93:94], v[108:109], v[93:94]
	;; [unrolled: 1-line block ×8, first 2 shown]
	v_fma_f64 v[68:69], v[6:7], v[54:55], v[42:43]
	v_fma_f64 v[60:61], v[114:115], v[62:63], -v[46:47]
	v_fma_f64 v[62:63], v[10:11], v[62:63], v[50:51]
	v_fma_f64 v[78:79], v[22:23], v[83:84], v[85:86]
	v_add_f64 v[83:84], v[56:57], v[76:77]
	v_add_f64 v[85:86], v[58:59], v[72:73]
	v_fma_f64 v[2:3], v[108:109], v[91:92], -v[185:186]
	v_fma_f64 v[10:11], v[4:5], v[91:92], v[93:94]
	v_fma_f64 v[4:5], v[112:113], v[87:88], -v[187:188]
	v_fma_f64 v[8:9], v[8:9], v[87:88], v[89:90]
	;; [unrolled: 2-line block ×3, first 2 shown]
	v_fma_f64 v[46:47], v[52:53], v[156:157], v[158:159]
	v_mul_f64 v[52:53], v[134:135], v[177:178]
	v_mul_f64 v[54:55], v[32:33], v[181:182]
	;; [unrolled: 1-line block ×3, first 2 shown]
	v_add_f64 v[89:90], v[68:69], -v[74:75]
	v_add_f64 v[91:92], v[60:61], v[64:65]
	v_add_f64 v[93:94], v[70:71], -v[62:63]
	v_add_f64 v[95:96], v[85:86], v[83:84]
	v_mul_f64 v[189:190], v[12:13], v[101:102]
	v_mul_f64 v[101:102], v[116:117], v[101:102]
	;; [unrolled: 1-line block ×5, first 2 shown]
	v_fma_f64 v[36:37], v[36:37], v[175:176], v[52:53]
	v_fma_f64 v[52:53], v[132:133], v[179:180], -v[54:55]
	v_add_f64 v[97:98], v[66:67], -v[78:79]
	v_fma_f64 v[54:55], v[32:33], v[179:180], v[87:88]
	v_add_f64 v[32:33], v[93:94], v[89:90]
	v_add_f64 v[87:88], v[91:92], v[95:96]
	v_add_f64 v[95:96], v[85:86], -v[83:84]
	v_add_f64 v[83:84], v[83:84], -v[91:92]
	;; [unrolled: 1-line block ×3, first 2 shown]
	v_mul_f64 v[154:155], v[124:125], v[154:155]
	v_fma_f64 v[6:7], v[116:117], v[99:100], -v[189:190]
	v_fma_f64 v[12:13], v[12:13], v[99:100], v[101:102]
	v_fma_f64 v[18:19], v[124:125], v[152:153], -v[193:194]
	v_fma_f64 v[22:23], v[146:147], v[148:149], -v[195:196]
	v_add_f64 v[91:92], v[93:94], -v[89:90]
	v_add_f64 v[93:94], v[97:98], -v[93:94]
	;; [unrolled: 1-line block ×3, first 2 shown]
	v_add_f64 v[32:33], v[32:33], v[97:98]
	v_add_f64 v[97:98], v[144:145], v[87:88]
	v_mul_f64 v[83:84], v[83:84], s[4:5]
	v_mul_f64 v[99:100], v[85:86], s[2:3]
	;; [unrolled: 1-line block ×3, first 2 shown]
	v_fma_f64 v[20:21], v[20:21], v[152:153], v[154:155]
	v_mul_f64 v[91:92], v[91:92], s[10:11]
	v_mul_f64 v[101:102], v[89:90], s[6:7]
	v_add_f64 v[106:107], v[4:5], v[18:19]
	v_fma_f64 v[87:88], v[87:88], s[14:15], v[97:98]
	v_fma_f64 v[85:86], v[85:86], s[2:3], v[83:84]
	v_fma_f64 v[99:100], v[95:96], s[16:17], -v[99:100]
	v_fma_f64 v[83:84], v[95:96], s[18:19], -v[83:84]
	v_add_f64 v[95:96], v[2:3], v[22:23]
	v_fma_f64 v[26:27], v[26:27], v[148:149], v[150:151]
	v_fma_f64 v[108:109], v[93:94], s[20:21], v[91:92]
	v_fma_f64 v[89:90], v[89:90], s[6:7], -v[91:92]
	v_fma_f64 v[91:92], v[93:94], s[22:23], -v[101:102]
	v_add_f64 v[85:86], v[85:86], v[87:88]
	v_add_f64 v[93:94], v[6:7], v[14:15]
	;; [unrolled: 1-line block ×5, first 2 shown]
	v_add_f64 v[87:88], v[8:9], -v[20:21]
	v_add_f64 v[110:111], v[16:17], -v[12:13]
	;; [unrolled: 1-line block ×3, first 2 shown]
	v_fma_f64 v[108:109], v[32:33], s[24:25], v[108:109]
	v_add_f64 v[114:115], v[95:96], -v[93:94]
	v_add_f64 v[95:96], v[106:107], -v[95:96]
	v_add_f64 v[101:102], v[93:94], v[101:102]
	v_add_f64 v[93:94], v[93:94], -v[106:107]
	v_fma_f64 v[89:90], v[32:33], s[24:25], v[89:90]
	v_add_f64 v[116:117], v[110:111], -v[87:88]
	v_add_f64 v[118:119], v[87:88], -v[112:113]
	v_add_f64 v[87:88], v[110:111], v[87:88]
	v_add_f64 v[110:111], v[112:113], -v[110:111]
	v_fma_f64 v[32:33], v[32:33], s[24:25], v[91:92]
	v_add_f64 v[103:104], v[104:105], v[101:102]
	v_mul_f64 v[105:106], v[114:115], s[4:5]
	v_mul_f64 v[114:115], v[93:94], s[2:3]
	v_mul_f64 v[116:117], v[116:117], s[10:11]
	v_mul_f64 v[120:121], v[118:119], s[6:7]
	v_add_f64 v[87:88], v[87:88], v[112:113]
	v_mul_f64 v[199:200], v[48:49], v[165:166]
	v_mul_f64 v[165:166], v[140:141], v[165:166]
	v_fma_f64 v[101:102], v[101:102], s[14:15], v[103:104]
	v_fma_f64 v[93:94], v[93:94], s[2:3], v[105:106]
	v_fma_f64 v[112:113], v[95:96], s[16:17], -v[114:115]
	v_fma_f64 v[95:96], v[95:96], s[18:19], -v[105:106]
	v_fma_f64 v[105:106], v[110:111], s[20:21], v[116:117]
	v_fma_f64 v[110:111], v[110:111], s[22:23], -v[120:121]
	v_fma_f64 v[114:115], v[118:119], s[6:7], -v[116:117]
	v_mul_f64 v[201:202], v[44:45], v[169:170]
	v_mul_f64 v[169:170], v[138:139], v[169:170]
	;; [unrolled: 1-line block ×4, first 2 shown]
	v_add_f64 v[93:94], v[93:94], v[101:102]
	v_add_f64 v[112:113], v[112:113], v[101:102]
	;; [unrolled: 1-line block ×3, first 2 shown]
	v_fma_f64 v[101:102], v[87:88], s[24:25], v[105:106]
	v_fma_f64 v[105:106], v[87:88], s[24:25], v[110:111]
	;; [unrolled: 1-line block ×3, first 2 shown]
	v_add_f64 v[91:92], v[108:109], v[85:86]
	v_add_f64 v[110:111], v[32:33], v[83:84]
	v_add_f64 v[114:115], v[99:100], -v[89:90]
	v_fma_f64 v[30:31], v[142:143], v[156:157], -v[197:198]
	v_fma_f64 v[34:35], v[140:141], v[163:164], -v[199:200]
	v_fma_f64 v[48:49], v[48:49], v[163:164], v[165:166]
	v_fma_f64 v[38:39], v[138:139], v[167:168], -v[201:202]
	v_fma_f64 v[42:43], v[44:45], v[167:168], v[169:170]
	;; [unrolled: 2-line block ×3, first 2 shown]
	v_fma_f64 v[50:51], v[134:135], v[175:176], -v[50:51]
	v_add_f64 v[89:90], v[89:90], v[99:100]
	v_add_f64 v[32:33], v[83:84], -v[32:33]
	v_add_f64 v[99:100], v[101:102], v[93:94]
	v_add_f64 v[85:86], v[85:86], -v[108:109]
	;; [unrolled: 2-line block ×4, first 2 shown]
	v_add_f64 v[93:94], v[93:94], -v[101:102]
	v_mov_b32_e32 v101, 3
	v_mad_u32_u24 v83, v205, s26, 0
	v_lshlrev_b32_sdwa v84, v101, v206 dst_sel:DWORD dst_unused:UNUSED_PAD src0_sel:DWORD src1_sel:BYTE_0
	v_add3_u32 v84, v83, v84, v161
	ds_write2_b64 v84, v[97:98], v[91:92] offset1:13
	ds_write2_b64 v84, v[110:111], v[114:115] offset0:26 offset1:39
	ds_write2_b64 v84, v[89:90], v[32:33] offset0:52 offset1:65
	ds_write_b64 v84, v[85:86] offset:624
	v_mad_u32_u24 v32, v207, s26, 0
	v_lshlrev_b32_sdwa v33, v101, v208 dst_sel:DWORD dst_unused:UNUSED_PAD src0_sel:DWORD src1_sel:BYTE_0
	v_add3_u32 v85, v32, v33, v161
	v_lshlrev_b32_e32 v83, 3, v209
	ds_write2_b64 v85, v[103:104], v[99:100] offset1:13
	ds_write2_b64 v85, v[107:108], v[116:117] offset0:26 offset1:39
	ds_write2_b64 v85, v[87:88], v[95:96] offset0:52 offset1:65
	ds_write_b64 v85, v[93:94] offset:624
	s_and_saveexec_b64 s[26:27], vcc
	s_cbranch_execz .LBB0_23
; %bb.22:
	v_add_f64 v[32:33], v[34:35], v[50:51]
	v_add_f64 v[86:87], v[30:31], v[52:53]
	v_add_f64 v[88:89], v[40:41], -v[42:43]
	v_add_f64 v[90:91], v[48:49], -v[36:37]
	v_add_f64 v[92:93], v[38:39], v[44:45]
	v_add_f64 v[94:95], v[46:47], -v[54:55]
	v_add_f64 v[96:97], v[32:33], v[86:87]
	v_add_f64 v[98:99], v[88:89], -v[90:91]
	v_add_f64 v[100:101], v[86:87], -v[92:93]
	;; [unrolled: 1-line block ×4, first 2 shown]
	v_add_f64 v[90:91], v[88:89], v[90:91]
	v_add_f64 v[88:89], v[94:95], -v[88:89]
	v_add_f64 v[92:93], v[92:93], v[96:97]
	v_add_f64 v[32:33], v[32:33], -v[86:87]
	v_mul_f64 v[86:87], v[98:99], s[10:11]
	v_mul_f64 v[96:97], v[100:101], s[4:5]
	;; [unrolled: 1-line block ×4, first 2 shown]
	v_add_f64 v[90:91], v[90:91], v[94:95]
	v_add_f64 v[80:81], v[80:81], v[92:93]
	v_fma_f64 v[94:95], v[88:89], s[20:21], v[86:87]
	v_fma_f64 v[106:107], v[32:33], s[18:19], -v[96:97]
	v_fma_f64 v[88:89], v[88:89], s[22:23], -v[98:99]
	;; [unrolled: 1-line block ×4, first 2 shown]
	v_fma_f64 v[96:97], v[104:105], s[2:3], v[96:97]
	v_fma_f64 v[92:93], v[92:93], s[14:15], v[80:81]
	;; [unrolled: 1-line block ×5, first 2 shown]
	v_add_f64 v[90:91], v[106:107], v[92:93]
	v_add_f64 v[32:33], v[32:33], v[92:93]
	v_add_f64 v[92:93], v[96:97], v[92:93]
	v_add_f64 v[96:97], v[90:91], -v[88:89]
	v_add_f64 v[98:99], v[32:33], -v[86:87]
	v_add_f64 v[100:101], v[94:95], v[92:93]
	v_add_f64 v[88:89], v[88:89], v[90:91]
	;; [unrolled: 1-line block ×3, first 2 shown]
	v_add_f64 v[86:87], v[92:93], -v[94:95]
	v_add3_u32 v90, 0, v83, v161
	v_add_u32_e32 v91, 0x2400, v90
	v_add_u32_e32 v92, 0x2800, v90
	ds_write2_b64 v91, v[80:81], v[100:101] offset0:122 offset1:135
	ds_write2_b64 v92, v[88:89], v[98:99] offset0:20 offset1:33
	;; [unrolled: 1-line block ×3, first 2 shown]
	ds_write_b64 v90, v[86:87] offset:10816
.LBB0_23:
	s_or_b64 exec, exec, s[26:27]
	v_add_f64 v[32:33], v[66:67], v[78:79]
	v_add_f64 v[66:67], v[68:69], v[74:75]
	v_add_f64 v[58:59], v[58:59], -v[72:73]
	v_add_f64 v[62:63], v[62:63], v[70:71]
	v_add_f64 v[60:61], v[64:65], -v[60:61]
	v_add_f64 v[56:57], v[56:57], -v[76:77]
	v_add_f64 v[2:3], v[2:3], -v[22:23]
	v_add_f64 v[4:5], v[4:5], -v[18:19]
	v_add_f64 v[12:13], v[12:13], v[16:17]
	v_add_f64 v[64:65], v[66:67], v[32:33]
	v_add_f64 v[6:7], v[14:15], -v[6:7]
	v_add_f64 v[14:15], v[32:33], -v[62:63]
	;; [unrolled: 1-line block ×4, first 2 shown]
	v_add_f64 v[10:11], v[10:11], v[26:27]
	v_add_f64 v[8:9], v[8:9], v[20:21]
	v_add_f64 v[20:21], v[66:67], -v[32:33]
	v_add_f64 v[16:17], v[62:63], v[64:65]
	v_add_f64 v[26:27], v[60:61], v[58:59]
	v_add_f64 v[32:33], v[56:57], -v[60:61]
	v_add_f64 v[58:59], v[58:59], -v[56:57]
	v_mul_f64 v[14:15], v[14:15], s[4:5]
	v_mul_f64 v[22:23], v[22:23], s[10:11]
	v_add_f64 v[60:61], v[8:9], v[10:11]
	v_add_f64 v[64:65], v[10:11], -v[12:13]
	v_add_f64 v[62:63], v[24:25], v[16:17]
	v_mul_f64 v[24:25], v[18:19], s[2:3]
	v_add_f64 v[26:27], v[26:27], v[56:57]
	v_mul_f64 v[56:57], v[58:59], s[6:7]
	v_fma_f64 v[18:19], v[18:19], s[2:3], v[14:15]
	v_fma_f64 v[14:15], v[20:21], s[18:19], -v[14:15]
	v_add_f64 v[66:67], v[12:13], -v[8:9]
	v_add_f64 v[12:13], v[12:13], v[60:61]
	v_fma_f64 v[16:17], v[16:17], s[14:15], v[62:63]
	v_fma_f64 v[24:25], v[20:21], s[16:17], -v[24:25]
	v_fma_f64 v[20:21], v[32:33], s[20:21], v[22:23]
	v_fma_f64 v[32:33], v[32:33], s[22:23], -v[56:57]
	v_add_f64 v[56:57], v[4:5], -v[2:3]
	v_fma_f64 v[22:23], v[58:59], s[6:7], -v[22:23]
	v_add_f64 v[8:9], v[8:9], -v[10:11]
	v_add_f64 v[68:69], v[0:1], v[12:13]
	v_add_f64 v[18:19], v[18:19], v[16:17]
	;; [unrolled: 1-line block ×4, first 2 shown]
	v_fma_f64 v[16:17], v[26:27], s[24:25], v[20:21]
	v_add_f64 v[20:21], v[6:7], -v[4:5]
	v_add_f64 v[4:5], v[6:7], v[4:5]
	v_mul_f64 v[0:1], v[64:65], s[4:5]
	v_mul_f64 v[10:11], v[66:67], s[2:3]
	v_add_f64 v[6:7], v[2:3], -v[6:7]
	v_mul_f64 v[58:59], v[56:57], s[6:7]
	v_fma_f64 v[22:23], v[26:27], s[24:25], v[22:23]
	v_fma_f64 v[26:27], v[26:27], s[24:25], v[32:33]
	v_mul_f64 v[20:21], v[20:21], s[10:11]
	v_add_f64 v[2:3], v[4:5], v[2:3]
	v_fma_f64 v[4:5], v[12:13], s[14:15], v[68:69]
	v_fma_f64 v[12:13], v[66:67], s[2:3], v[0:1]
	v_fma_f64 v[10:11], v[8:9], s[16:17], -v[10:11]
	v_fma_f64 v[0:1], v[8:9], s[18:19], -v[0:1]
	v_add_f64 v[64:65], v[18:19], -v[16:17]
	v_add_f64 v[66:67], v[14:15], -v[26:27]
	v_fma_f64 v[8:9], v[6:7], s[20:21], v[20:21]
	v_fma_f64 v[6:7], v[6:7], s[22:23], -v[58:59]
	v_fma_f64 v[20:21], v[56:57], s[6:7], -v[20:21]
	v_add_f64 v[12:13], v[12:13], v[4:5]
	v_add_f64 v[10:11], v[10:11], v[4:5]
	v_add_f64 v[0:1], v[0:1], v[4:5]
	v_add_f64 v[70:71], v[22:23], v[24:25]
	v_add_f64 v[72:73], v[24:25], -v[22:23]
	v_fma_f64 v[4:5], v[2:3], s[24:25], v[8:9]
	v_fma_f64 v[6:7], v[2:3], s[24:25], v[6:7]
	;; [unrolled: 1-line block ×3, first 2 shown]
	v_add_f64 v[74:75], v[26:27], v[14:15]
	v_add_u32_e32 v56, 0x800, v160
	v_add_u32_e32 v58, 0xc00, v160
	;; [unrolled: 1-line block ×6, first 2 shown]
	v_add_f64 v[76:77], v[16:17], v[18:19]
	v_add_f64 v[78:79], v[12:13], -v[4:5]
	v_add_f64 v[80:81], v[0:1], -v[6:7]
	v_add_f64 v[86:87], v[2:3], v[10:11]
	v_add_f64 v[88:89], v[10:11], -v[2:3]
	v_add_f64 v[90:91], v[6:7], v[0:1]
	v_add_f64 v[92:93], v[4:5], v[12:13]
	s_waitcnt lgkmcnt(0)
	s_barrier
	ds_read_b64 v[32:33], v129
	ds_read2_b64 v[20:23], v56 offset0:17 offset1:108
	ds_read2_b64 v[4:7], v58 offset0:71 offset1:162
	;; [unrolled: 1-line block ×7, first 2 shown]
	s_waitcnt lgkmcnt(0)
	s_barrier
	ds_write2_b64 v84, v[62:63], v[64:65] offset1:13
	ds_write2_b64 v84, v[66:67], v[70:71] offset0:26 offset1:39
	ds_write2_b64 v84, v[72:73], v[74:75] offset0:52 offset1:65
	ds_write_b64 v84, v[76:77] offset:624
	ds_write2_b64 v85, v[68:69], v[78:79] offset1:13
	ds_write2_b64 v85, v[80:81], v[86:87] offset0:26 offset1:39
	ds_write2_b64 v85, v[88:89], v[90:91] offset0:52 offset1:65
	ds_write_b64 v85, v[92:93] offset:624
	s_and_saveexec_b64 s[2:3], vcc
	s_cbranch_execz .LBB0_25
; %bb.24:
	v_add_f64 v[46:47], v[46:47], v[54:55]
	v_add_f64 v[36:37], v[48:49], v[36:37]
	;; [unrolled: 1-line block ×3, first 2 shown]
	v_add_f64 v[34:35], v[34:35], -v[50:51]
	v_add_f64 v[38:39], v[44:45], -v[38:39]
	;; [unrolled: 1-line block ×3, first 2 shown]
	s_mov_b32 s6, 0x36b3c0b5
	s_mov_b32 s7, 0x3fac98ee
	;; [unrolled: 1-line block ×3, first 2 shown]
	v_add_f64 v[42:43], v[36:37], v[46:47]
	v_add_f64 v[44:45], v[46:47], -v[40:41]
	s_mov_b32 s15, 0x3febfeb5
	v_add_f64 v[48:49], v[38:39], v[34:35]
	v_add_f64 v[50:51], v[38:39], -v[34:35]
	v_add_f64 v[34:35], v[34:35], -v[30:31]
	v_add_f64 v[38:39], v[30:31], -v[38:39]
	s_mov_b32 s16, 0xaaaaaaaa
	v_add_f64 v[42:43], v[40:41], v[42:43]
	v_add_f64 v[40:41], v[40:41], -v[36:37]
	v_add_f64 v[36:37], v[36:37], -v[46:47]
	v_mul_f64 v[44:45], v[44:45], s[4:5]
	v_add_f64 v[30:31], v[48:49], v[30:31]
	v_mul_f64 v[48:49], v[50:51], s[10:11]
	v_mul_f64 v[50:51], v[34:35], s[14:15]
	s_mov_b32 s5, 0x3fe77f67
	v_add_f64 v[28:29], v[28:29], v[42:43]
	v_mul_f64 v[46:47], v[40:41], s[6:7]
	s_mov_b32 s4, 0x5476071b
	s_mov_b32 s17, 0xbff2aaaa
	v_fma_f64 v[40:41], v[40:41], s[6:7], v[44:45]
	v_fma_f64 v[34:35], v[34:35], s[14:15], -v[48:49]
	v_fma_f64 v[42:43], v[42:43], s[16:17], v[28:29]
	v_fma_f64 v[46:47], v[36:37], s[4:5], -v[46:47]
	s_mov_b32 s5, 0xbfe77f67
	v_fma_f64 v[36:37], v[36:37], s[4:5], -v[44:45]
	s_mov_b32 s5, 0x3fd5d0dc
	s_mov_b32 s4, 0xb247c609
	v_fma_f64 v[44:45], v[38:39], s[4:5], v[48:49]
	s_mov_b32 s5, 0xbfd5d0dc
	v_fma_f64 v[38:39], v[38:39], s[4:5], -v[50:51]
	s_mov_b32 s4, 0x37c3f68c
	s_mov_b32 s5, 0x3fdc38aa
	v_add_f64 v[40:41], v[40:41], v[42:43]
	v_add_f64 v[46:47], v[46:47], v[42:43]
	;; [unrolled: 1-line block ×3, first 2 shown]
	v_fma_f64 v[42:43], v[30:31], s[4:5], v[44:45]
	v_fma_f64 v[38:39], v[30:31], s[4:5], v[38:39]
	;; [unrolled: 1-line block ×3, first 2 shown]
	v_add_f64 v[34:35], v[40:41], -v[42:43]
	v_add_f64 v[44:45], v[36:37], -v[38:39]
	v_add_f64 v[48:49], v[30:31], v[46:47]
	v_add_f64 v[30:31], v[46:47], -v[30:31]
	v_add_f64 v[36:37], v[38:39], v[36:37]
	v_add_f64 v[38:39], v[42:43], v[40:41]
	v_add3_u32 v40, 0, v83, v161
	v_add_u32_e32 v41, 0x2400, v40
	ds_write2_b64 v41, v[28:29], v[34:35] offset0:122 offset1:135
	v_add_u32_e32 v28, 0x2800, v40
	ds_write2_b64 v28, v[44:45], v[48:49] offset0:20 offset1:33
	ds_write2_b64 v28, v[30:31], v[36:37] offset0:46 offset1:59
	ds_write_b64 v40, v[38:39] offset:10816
.LBB0_25:
	s_or_b64 exec, exec, s[2:3]
	v_lshlrev_b32_e32 v28, 2, v128
	v_mov_b32_e32 v29, 0
	v_lshlrev_b64 v[30:31], 4, v[28:29]
	v_mov_b32_e32 v28, s9
	v_add_co_u32_e32 v30, vcc, s8, v30
	v_addc_co_u32_e32 v31, vcc, v28, v31, vcc
	s_waitcnt lgkmcnt(0)
	s_barrier
	global_load_dwordx4 v[34:37], v[30:31], off offset:1248
	global_load_dwordx4 v[38:41], v[30:31], off offset:1264
	;; [unrolled: 1-line block ×4, first 2 shown]
	s_movk_i32 s2, 0x6817
	v_mul_u32_u24_sdwa v28, v82, s2 dst_sel:DWORD dst_unused:UNUSED_PAD src0_sel:WORD_0 src1_sel:DWORD
	v_sub_u16_sdwa v30, v82, v28 dst_sel:DWORD dst_unused:UNUSED_PAD src0_sel:DWORD src1_sel:WORD_1
	v_lshrrev_b16_e32 v30, 1, v30
	v_add_u16_sdwa v28, v30, v28 dst_sel:DWORD dst_unused:UNUSED_PAD src0_sel:DWORD src1_sel:WORD_1
	v_lshrrev_b16_e32 v28, 6, v28
	v_mul_lo_u16_e32 v28, 0x5b, v28
	v_sub_u16_e32 v28, v82, v28
	v_lshlrev_b32_e32 v30, 6, v28
	global_load_dwordx4 v[50:53], v30, s[8:9] offset:1248
	global_load_dwordx4 v[62:65], v30, s[8:9] offset:1264
	;; [unrolled: 1-line block ×4, first 2 shown]
	ds_read_b64 v[30:31], v129
	ds_read2_b64 v[74:77], v56 offset0:17 offset1:108
	ds_read2_b64 v[78:81], v58 offset0:71 offset1:162
	;; [unrolled: 1-line block ×7, first 2 shown]
	s_mov_b32 s6, 0x134454ff
	s_mov_b32 s7, 0x3fee6f0e
	;; [unrolled: 1-line block ×10, first 2 shown]
	s_waitcnt vmcnt(0) lgkmcnt(0)
	s_barrier
	v_mul_f64 v[54:55], v[74:75], v[36:37]
	v_mul_f64 v[105:106], v[80:81], v[40:41]
	;; [unrolled: 1-line block ×20, first 2 shown]
	v_fma_f64 v[20:21], v[20:21], v[34:35], -v[54:55]
	v_fma_f64 v[6:7], v[6:7], v[38:39], -v[105:106]
	;; [unrolled: 1-line block ×4, first 2 shown]
	v_mul_f64 v[132:133], v[97:98], v[64:65]
	v_mul_f64 v[64:65], v[18:19], v[64:65]
	;; [unrolled: 1-line block ×4, first 2 shown]
	v_fma_f64 v[54:55], v[74:75], v[34:35], v[103:104]
	v_fma_f64 v[74:75], v[80:81], v[38:39], v[107:108]
	;; [unrolled: 1-line block ×4, first 2 shown]
	v_fma_f64 v[22:23], v[22:23], v[34:35], -v[117:118]
	v_fma_f64 v[34:35], v[76:77], v[34:35], v[36:37]
	v_fma_f64 v[16:17], v[16:17], v[38:39], -v[119:120]
	v_fma_f64 v[36:37], v[95:96], v[38:39], v[40:41]
	;; [unrolled: 2-line block ×4, first 2 shown]
	v_fma_f64 v[42:43], v[78:79], v[50:51], v[52:53]
	v_fma_f64 v[46:47], v[87:88], v[66:67], v[68:69]
	v_add_f64 v[52:53], v[6:7], v[24:25]
	v_add_f64 v[68:69], v[20:21], v[10:11]
	v_fma_f64 v[4:5], v[4:5], v[50:51], -v[125:126]
	v_fma_f64 v[18:19], v[18:19], v[62:63], -v[132:133]
	v_fma_f64 v[44:45], v[97:98], v[62:63], v[64:65]
	v_fma_f64 v[8:9], v[8:9], v[66:67], -v[134:135]
	v_fma_f64 v[14:15], v[14:15], v[70:71], -v[136:137]
	v_fma_f64 v[48:49], v[101:102], v[70:71], v[72:73]
	v_add_f64 v[50:51], v[32:33], v[20:21]
	v_add_f64 v[62:63], v[54:55], -v[83:84]
	v_add_f64 v[64:65], v[74:75], -v[80:81]
	;; [unrolled: 1-line block ×4, first 2 shown]
	v_add_f64 v[78:79], v[30:31], v[54:55]
	v_add_f64 v[85:86], v[74:75], v[80:81]
	v_fma_f64 v[52:53], v[52:53], -0.5, v[32:33]
	v_fma_f64 v[32:33], v[68:69], -0.5, v[32:33]
	v_add_f64 v[72:73], v[6:7], -v[20:21]
	v_add_f64 v[76:77], v[24:25], -v[10:11]
	;; [unrolled: 1-line block ×4, first 2 shown]
	v_add_f64 v[6:7], v[50:51], v[6:7]
	v_add_f64 v[50:51], v[66:67], v[70:71]
	;; [unrolled: 1-line block ×3, first 2 shown]
	v_fma_f64 v[70:71], v[62:63], s[6:7], v[52:53]
	v_fma_f64 v[52:53], v[62:63], s[14:15], v[52:53]
	;; [unrolled: 1-line block ×4, first 2 shown]
	v_fma_f64 v[85:86], v[85:86], -0.5, v[30:31]
	v_add_f64 v[87:88], v[54:55], v[83:84]
	v_add_f64 v[72:73], v[72:73], v[76:77]
	;; [unrolled: 1-line block ×4, first 2 shown]
	v_fma_f64 v[66:67], v[64:65], s[2:3], v[70:71]
	v_fma_f64 v[52:53], v[64:65], s[10:11], v[52:53]
	;; [unrolled: 1-line block ×5, first 2 shown]
	v_fma_f64 v[30:31], v[87:88], -0.5, v[30:31]
	v_add_f64 v[6:7], v[6:7], v[10:11]
	v_add_f64 v[70:71], v[24:25], v[83:84]
	v_fma_f64 v[10:11], v[50:51], s[4:5], v[66:67]
	v_fma_f64 v[24:25], v[50:51], s[4:5], v[52:53]
	;; [unrolled: 1-line block ×3, first 2 shown]
	v_add_f64 v[64:65], v[83:84], -v[80:81]
	v_fma_f64 v[52:53], v[68:69], s[10:11], v[62:63]
	v_add_f64 v[62:63], v[54:55], -v[74:75]
	v_add_f64 v[66:67], v[0:1], v[22:23]
	v_fma_f64 v[32:33], v[72:73], s[4:5], v[32:33]
	v_fma_f64 v[72:73], v[20:21], s[6:7], v[85:86]
	v_add_f64 v[76:77], v[16:17], v[26:27]
	v_fma_f64 v[78:79], v[68:69], s[6:7], v[30:31]
	v_add_f64 v[54:55], v[74:75], -v[54:55]
	v_add_f64 v[74:75], v[80:81], -v[83:84]
	v_fma_f64 v[30:31], v[68:69], s[14:15], v[30:31]
	v_add_f64 v[62:63], v[62:63], v[64:65]
	v_add_f64 v[64:65], v[66:67], v[16:17]
	v_fma_f64 v[66:67], v[68:69], s[2:3], v[72:73]
	v_fma_f64 v[68:69], v[76:77], -0.5, v[0:1]
	v_add_f64 v[72:73], v[34:35], -v[40:41]
	v_fma_f64 v[76:77], v[20:21], s[10:11], v[78:79]
	v_add_f64 v[54:55], v[54:55], v[74:75]
	v_fma_f64 v[20:21], v[20:21], s[2:3], v[30:31]
	v_add_f64 v[30:31], v[22:23], v[12:13]
	v_add_f64 v[64:65], v[64:65], v[26:27]
	v_fma_f64 v[52:53], v[62:63], s[4:5], v[52:53]
	v_fma_f64 v[62:63], v[62:63], s[4:5], v[66:67]
	;; [unrolled: 1-line block ×3, first 2 shown]
	v_add_f64 v[74:75], v[36:37], -v[38:39]
	v_fma_f64 v[76:77], v[54:55], s[4:5], v[76:77]
	v_fma_f64 v[54:55], v[54:55], s[4:5], v[20:21]
	v_fma_f64 v[0:1], v[30:31], -0.5, v[0:1]
	v_add_f64 v[20:21], v[64:65], v[12:13]
	v_add_f64 v[30:31], v[22:23], -v[16:17]
	v_add_f64 v[64:65], v[12:13], -v[26:27]
	v_fma_f64 v[68:69], v[72:73], s[14:15], v[68:69]
	v_add_f64 v[78:79], v[91:92], v[34:35]
	v_fma_f64 v[66:67], v[74:75], s[2:3], v[66:67]
	v_add_f64 v[80:81], v[36:37], v[38:39]
	v_fma_f64 v[83:84], v[74:75], s[14:15], v[0:1]
	v_add_f64 v[85:86], v[16:17], -v[22:23]
	v_add_f64 v[87:88], v[26:27], -v[12:13]
	v_add_f64 v[30:31], v[30:31], v[64:65]
	v_fma_f64 v[64:65], v[74:75], s[10:11], v[68:69]
	v_add_f64 v[68:69], v[78:79], v[36:37]
	v_fma_f64 v[0:1], v[74:75], s[6:7], v[0:1]
	v_fma_f64 v[74:75], v[80:81], -0.5, v[91:92]
	v_add_f64 v[12:13], v[22:23], -v[12:13]
	v_fma_f64 v[22:23], v[72:73], s[2:3], v[83:84]
	v_add_f64 v[78:79], v[85:86], v[87:88]
	v_fma_f64 v[66:67], v[30:31], s[4:5], v[66:67]
	v_fma_f64 v[30:31], v[30:31], s[4:5], v[64:65]
	v_add_f64 v[64:65], v[68:69], v[38:39]
	v_add_f64 v[68:69], v[34:35], v[40:41]
	v_fma_f64 v[0:1], v[72:73], s[10:11], v[0:1]
	v_add_f64 v[16:17], v[16:17], -v[26:27]
	v_add_f64 v[26:27], v[18:19], v[8:9]
	v_add_f64 v[80:81], v[34:35], -v[36:37]
	v_add_f64 v[83:84], v[40:41], -v[38:39]
	v_fma_f64 v[72:73], v[12:13], s[14:15], v[74:75]
	v_fma_f64 v[22:23], v[78:79], s[4:5], v[22:23]
	v_fma_f64 v[68:69], v[68:69], -0.5, v[91:92]
	v_fma_f64 v[0:1], v[78:79], s[4:5], v[0:1]
	v_add_f64 v[78:79], v[2:3], v[4:5]
	v_fma_f64 v[26:27], v[26:27], -0.5, v[2:3]
	v_add_f64 v[85:86], v[42:43], -v[48:49]
	v_add_f64 v[80:81], v[80:81], v[83:84]
	v_fma_f64 v[74:75], v[12:13], s[6:7], v[74:75]
	v_add_f64 v[34:35], v[36:37], -v[34:35]
	v_fma_f64 v[83:84], v[16:17], s[6:7], v[68:69]
	v_add_f64 v[36:37], v[38:39], -v[40:41]
	v_add_f64 v[64:65], v[64:65], v[40:41]
	v_fma_f64 v[72:73], v[16:17], s[10:11], v[72:73]
	v_fma_f64 v[38:39], v[16:17], s[14:15], v[68:69]
	v_add_f64 v[40:41], v[78:79], v[18:19]
	v_fma_f64 v[68:69], v[85:86], s[6:7], v[26:27]
	v_add_f64 v[78:79], v[44:45], -v[46:47]
	v_add_f64 v[87:88], v[4:5], -v[18:19]
	;; [unrolled: 1-line block ×3, first 2 shown]
	v_fma_f64 v[16:17], v[16:17], s[2:3], v[74:75]
	v_add_f64 v[74:75], v[4:5], v[14:15]
	v_fma_f64 v[83:84], v[12:13], s[10:11], v[83:84]
	v_add_f64 v[34:35], v[34:35], v[36:37]
	;; [unrolled: 2-line block ×4, first 2 shown]
	v_fma_f64 v[68:69], v[80:81], s[4:5], v[72:73]
	v_fma_f64 v[2:3], v[74:75], -0.5, v[2:3]
	v_fma_f64 v[72:73], v[80:81], s[4:5], v[16:17]
	v_fma_f64 v[74:75], v[34:35], s[4:5], v[83:84]
	v_add_f64 v[16:17], v[44:45], v[46:47]
	v_add_f64 v[83:84], v[42:43], v[48:49]
	v_fma_f64 v[26:27], v[85:86], s[14:15], v[26:27]
	v_add_f64 v[89:90], v[93:94], v[42:43]
	v_fma_f64 v[34:35], v[34:35], s[4:5], v[12:13]
	v_add_f64 v[12:13], v[36:37], v[14:15]
	v_fma_f64 v[36:37], v[40:41], s[4:5], v[38:39]
	v_fma_f64 v[38:39], v[78:79], s[14:15], v[2:3]
	v_add_f64 v[80:81], v[18:19], -v[4:5]
	v_add_f64 v[87:88], v[8:9], -v[14:15]
	v_fma_f64 v[16:17], v[16:17], -0.5, v[93:94]
	v_add_f64 v[4:5], v[4:5], -v[14:15]
	v_add_f64 v[8:9], v[18:19], -v[8:9]
	v_fma_f64 v[18:19], v[83:84], -0.5, v[93:94]
	v_fma_f64 v[2:3], v[78:79], s[6:7], v[2:3]
	v_fma_f64 v[14:15], v[78:79], s[10:11], v[26:27]
	v_add_f64 v[78:79], v[89:90], v[44:45]
	v_fma_f64 v[26:27], v[85:86], s[2:3], v[38:39]
	v_add_f64 v[38:39], v[80:81], v[87:88]
	v_fma_f64 v[80:81], v[4:5], s[14:15], v[16:17]
	v_add_f64 v[83:84], v[42:43], -v[44:45]
	v_add_f64 v[87:88], v[48:49], -v[46:47]
	v_fma_f64 v[16:17], v[4:5], s[6:7], v[16:17]
	v_fma_f64 v[89:90], v[8:9], s[6:7], v[18:19]
	v_add_f64 v[42:43], v[44:45], -v[42:43]
	v_add_f64 v[44:45], v[46:47], -v[48:49]
	v_fma_f64 v[18:19], v[8:9], s[14:15], v[18:19]
	v_fma_f64 v[2:3], v[85:86], s[10:11], v[2:3]
	v_add_f64 v[46:47], v[78:79], v[46:47]
	v_fma_f64 v[78:79], v[8:9], s[10:11], v[80:81]
	v_add_f64 v[80:81], v[83:84], v[87:88]
	v_fma_f64 v[8:9], v[8:9], s[2:3], v[16:17]
	v_fma_f64 v[16:17], v[4:5], s[10:11], v[89:90]
	v_add_f64 v[42:43], v[42:43], v[44:45]
	v_fma_f64 v[4:5], v[4:5], s[2:3], v[18:19]
	v_fma_f64 v[18:19], v[38:39], s[4:5], v[26:27]
	v_fma_f64 v[2:3], v[38:39], s[4:5], v[2:3]
	v_fma_f64 v[14:15], v[40:41], s[4:5], v[14:15]
	v_add_f64 v[38:39], v[46:47], v[48:49]
	v_add_u32_e32 v48, 0x400, v160
	ds_write2_b64 v160, v[6:7], v[10:11] offset1:91
	ds_write2_b64 v48, v[50:51], v[32:33] offset0:54 offset1:145
	ds_write2_b64 v56, v[24:25], v[20:21] offset0:108 offset1:199
	;; [unrolled: 1-line block ×3, first 2 shown]
	v_add_u32_e32 v32, 0x1400, v160
	ds_write2_b64 v32, v[0:1], v[30:31] offset0:88 offset1:179
	v_lshlrev_b32_e32 v0, 3, v28
	v_add3_u32 v28, 0, v0, v161
	v_add_u32_e32 v33, 0x1800, v28
	ds_write2_b64 v33, v[12:13], v[36:37] offset0:142 offset1:233
	v_add_u32_e32 v36, 0x2000, v28
	v_fma_f64 v[44:45], v[80:81], s[4:5], v[8:9]
	v_fma_f64 v[46:47], v[42:43], s[4:5], v[16:17]
	;; [unrolled: 1-line block ×3, first 2 shown]
	ds_write2_b64 v36, v[18:19], v[2:3] offset0:68 offset1:159
	ds_write_b64 v28, v[14:15] offset:10192
	s_waitcnt lgkmcnt(0)
	s_barrier
	ds_read_b64 v[30:31], v129
	ds_read2_b64 v[4:7], v58 offset0:71 offset1:162
	ds_read2_b64 v[8:11], v59 offset0:51 offset1:142
	;; [unrolled: 1-line block ×7, first 2 shown]
	v_fma_f64 v[40:41], v[80:81], s[4:5], v[78:79]
	s_waitcnt lgkmcnt(0)
	s_barrier
	ds_write2_b64 v160, v[70:71], v[52:53] offset1:91
	ds_write2_b64 v48, v[76:77], v[54:55] offset0:54 offset1:145
	ds_write2_b64 v56, v[62:63], v[64:65] offset0:108 offset1:199
	;; [unrolled: 1-line block ×6, first 2 shown]
	ds_write_b64 v28, v[44:45] offset:10192
	s_waitcnt lgkmcnt(0)
	s_barrier
	s_and_saveexec_b64 s[2:3], s[0:1]
	s_cbranch_execz .LBB0_27
; %bb.26:
	v_add_u32_e32 v32, 0x16c, v128
	v_lshlrev_b32_e32 v28, 1, v32
	v_lshlrev_b64 v[33:34], 4, v[28:29]
	v_mov_b32_e32 v80, s9
	v_add_co_u32_e32 v28, vcc, s8, v33
	v_addc_co_u32_e32 v33, vcc, v80, v34, vcc
	v_add_co_u32_e32 v42, vcc, 0x1ba0, v28
	v_addc_co_u32_e32 v43, vcc, 0, v33, vcc
	;; [unrolled: 2-line block ×3, first 2 shown]
	global_load_dwordx4 v[34:37], v[44:45], off offset:2976
	global_load_dwordx4 v[38:41], v[42:43], off offset:16
	v_add_u32_e32 v33, 0x111, v128
	v_lshlrev_b32_e32 v28, 1, v33
	v_lshlrev_b64 v[42:43], 4, v[28:29]
	s_movk_i32 s0, 0x1ba0
	v_add_co_u32_e32 v28, vcc, s8, v42
	v_addc_co_u32_e32 v42, vcc, v80, v43, vcc
	v_add_co_u32_e32 v50, vcc, s0, v28
	s_movk_i32 s4, 0x1000
	v_addc_co_u32_e32 v51, vcc, 0, v42, vcc
	v_add_co_u32_e32 v52, vcc, s4, v28
	v_addc_co_u32_e32 v53, vcc, 0, v42, vcc
	global_load_dwordx4 v[42:45], v[52:53], off offset:2976
	global_load_dwordx4 v[46:49], v[50:51], off offset:16
	v_lshlrev_b32_e32 v28, 1, v82
	v_lshlrev_b64 v[50:51], 4, v[28:29]
	v_add_u32_e32 v62, 0x1800, v160
	v_add_co_u32_e32 v28, vcc, s8, v50
	v_addc_co_u32_e32 v50, vcc, v80, v51, vcc
	v_add_co_u32_e32 v58, vcc, s0, v28
	v_addc_co_u32_e32 v59, vcc, 0, v50, vcc
	v_add_co_u32_e32 v60, vcc, s4, v28
	v_addc_co_u32_e32 v61, vcc, 0, v50, vcc
	global_load_dwordx4 v[50:53], v[60:61], off offset:2976
	global_load_dwordx4 v[54:57], v[58:59], off offset:16
	v_lshlrev_b32_e32 v28, 1, v162
	v_lshlrev_b64 v[66:67], 4, v[28:29]
	v_lshlrev_b32_e32 v28, 1, v128
	v_lshlrev_b64 v[74:75], 4, v[28:29]
	v_add_co_u32_e32 v28, vcc, s8, v66
	v_addc_co_u32_e32 v66, vcc, v80, v67, vcc
	v_add_co_u32_e32 v76, vcc, s0, v28
	v_addc_co_u32_e32 v77, vcc, 0, v66, vcc
	;; [unrolled: 2-line block ×3, first 2 shown]
	v_add_u32_e32 v63, 0x2000, v160
	v_add_co_u32_e32 v28, vcc, s8, v74
	ds_read2_b64 v[58:61], v62 offset0:51 offset1:142
	ds_read2_b64 v[62:65], v63 offset0:159 offset1:250
	global_load_dwordx4 v[66:69], v[78:79], off offset:2976
	global_load_dwordx4 v[70:73], v[76:77], off offset:16
	v_addc_co_u32_e32 v78, vcc, v80, v75, vcc
	v_add_co_u32_e32 v83, vcc, s0, v28
	v_addc_co_u32_e32 v84, vcc, 0, v78, vcc
	v_add_co_u32_e32 v85, vcc, s4, v28
	v_addc_co_u32_e32 v86, vcc, 0, v78, vcc
	v_add_u32_e32 v87, 0x800, v160
	v_add_u32_e32 v28, 0x1000, v160
	s_mov_b32 s0, 0xe8584caa
	s_mov_b32 s1, 0x3febb67a
	s_mov_b32 s3, 0xbfebb67a
	s_mov_b32 s2, s0
	s_movk_i32 s5, 0x2000
	s_waitcnt vmcnt(7)
	v_mul_f64 v[74:75], v[8:9], v[36:37]
	s_waitcnt vmcnt(6)
	v_mul_f64 v[76:77], v[26:27], v[40:41]
	s_waitcnt lgkmcnt(1)
	v_mul_f64 v[36:37], v[58:59], v[36:37]
	s_waitcnt lgkmcnt(0)
	v_mul_f64 v[40:41], v[64:65], v[40:41]
	v_fma_f64 v[58:59], v[34:35], v[58:59], v[74:75]
	v_fma_f64 v[64:65], v[38:39], v[64:65], v[76:77]
	global_load_dwordx4 v[74:77], v[85:86], off offset:2976
	global_load_dwordx4 v[78:81], v[83:84], off offset:16
	v_fma_f64 v[8:9], v[8:9], v[34:35], -v[36:37]
	v_fma_f64 v[83:84], v[26:27], v[38:39], -v[40:41]
	ds_read2_b64 v[34:37], v87 offset0:17 offset1:108
	ds_read2_b64 v[38:41], v28 offset0:125 offset1:216
	v_add_u32_e32 v28, 0x1c00, v160
	v_add_f64 v[26:27], v[58:59], v[64:65]
	s_waitcnt vmcnt(7)
	v_mul_f64 v[85:86], v[22:23], v[44:45]
	s_waitcnt vmcnt(6)
	v_mul_f64 v[87:88], v[24:25], v[48:49]
	v_add_f64 v[91:92], v[8:9], v[83:84]
	s_waitcnt lgkmcnt(0)
	v_mul_f64 v[44:45], v[40:41], v[44:45]
	v_mul_f64 v[48:49], v[62:63], v[48:49]
	v_add_f64 v[89:90], v[8:9], -v[83:84]
	v_add_f64 v[8:9], v[18:19], v[8:9]
	v_fma_f64 v[93:94], v[26:27], -0.5, v[36:37]
	v_add_f64 v[36:37], v[58:59], v[36:37]
	v_fma_f64 v[85:86], v[42:43], v[40:41], v[85:86]
	v_fma_f64 v[87:88], v[46:47], v[62:63], v[87:88]
	v_add_f64 v[40:41], v[58:59], -v[64:65]
	v_fma_f64 v[58:59], v[91:92], -0.5, v[18:19]
	v_fma_f64 v[91:92], v[22:23], v[42:43], -v[44:45]
	v_fma_f64 v[95:96], v[24:25], v[46:47], -v[48:49]
	v_add_f64 v[44:45], v[8:9], v[83:84]
	v_add_f64 v[46:47], v[64:65], v[36:37]
	s_waitcnt vmcnt(5)
	v_mul_f64 v[36:37], v[20:21], v[52:53]
	s_waitcnt vmcnt(4)
	v_mul_f64 v[48:49], v[14:15], v[56:57]
	v_add_f64 v[18:19], v[85:86], v[87:88]
	ds_read2_b64 v[62:65], v28 offset0:105 offset1:196
	v_mul_f64 v[52:53], v[38:39], v[52:53]
	v_add_f64 v[22:23], v[91:92], v[95:96]
	v_add_f64 v[8:9], v[91:92], -v[95:96]
	v_fma_f64 v[24:25], v[40:41], s[2:3], v[58:59]
	s_waitcnt lgkmcnt(0)
	v_mul_f64 v[56:57], v[64:65], v[56:57]
	v_fma_f64 v[38:39], v[50:51], v[38:39], v[36:37]
	v_fma_f64 v[64:65], v[54:55], v[64:65], v[48:49]
	v_fma_f64 v[18:19], v[18:19], -0.5, v[34:35]
	v_fma_f64 v[40:41], v[40:41], s[0:1], v[58:59]
	v_add_f64 v[34:35], v[85:86], v[34:35]
	v_fma_f64 v[58:59], v[22:23], -0.5, v[16:17]
	v_add_f64 v[83:84], v[85:86], -v[87:88]
	v_fma_f64 v[52:53], v[20:21], v[50:51], -v[52:53]
	v_fma_f64 v[56:57], v[14:15], v[54:55], -v[56:57]
	v_add_f64 v[54:55], v[38:39], v[64:65]
	v_add_u32_e32 v28, 0xc00, v160
	v_fma_f64 v[22:23], v[8:9], s[0:1], v[18:19]
	v_fma_f64 v[36:37], v[8:9], s[2:3], v[18:19]
	v_add_f64 v[8:9], v[16:17], v[91:92]
	ds_read2_b64 v[14:17], v160 offset0:91 offset1:182
	ds_read2_b64 v[48:51], v28 offset0:71 offset1:162
	v_fma_f64 v[26:27], v[89:90], s[0:1], v[93:94]
	v_fma_f64 v[42:43], v[89:90], s[2:3], v[93:94]
	v_add_f64 v[18:19], v[87:88], v[34:35]
	v_fma_f64 v[20:21], v[83:84], s[2:3], v[58:59]
	v_fma_f64 v[34:35], v[83:84], s[0:1], v[58:59]
	s_waitcnt vmcnt(3)
	v_mul_f64 v[83:84], v[6:7], v[68:69]
	s_waitcnt vmcnt(2)
	v_mul_f64 v[85:86], v[12:13], v[72:73]
	v_add_f64 v[87:88], v[52:53], -v[56:57]
	s_waitcnt lgkmcnt(1)
	v_fma_f64 v[54:55], v[54:55], -0.5, v[16:17]
	v_add_f64 v[89:90], v[38:39], v[16:17]
	s_waitcnt lgkmcnt(0)
	v_mul_f64 v[68:69], v[50:51], v[68:69]
	v_mul_f64 v[72:73], v[62:63], v[72:73]
	v_add_f64 v[58:59], v[52:53], v[56:57]
	v_fma_f64 v[83:84], v[66:67], v[50:51], v[83:84]
	v_fma_f64 v[62:63], v[70:71], v[62:63], v[85:86]
	v_add_f64 v[38:39], v[38:39], -v[64:65]
	v_add_f64 v[16:17], v[8:9], v[95:96]
	v_fma_f64 v[8:9], v[87:88], s[0:1], v[54:55]
	v_fma_f64 v[50:51], v[87:88], s[2:3], v[54:55]
	v_add_f64 v[54:55], v[64:65], v[89:90]
	v_fma_f64 v[64:65], v[6:7], v[66:67], -v[68:69]
	v_fma_f64 v[66:67], v[12:13], v[70:71], -v[72:73]
	v_fma_f64 v[58:59], v[58:59], -0.5, v[2:3]
	v_add_f64 v[12:13], v[83:84], v[62:63]
	v_add_f64 v[2:3], v[2:3], v[52:53]
	s_waitcnt vmcnt(1)
	v_mul_f64 v[68:69], v[4:5], v[76:77]
	s_waitcnt vmcnt(0)
	v_mul_f64 v[70:71], v[10:11], v[80:81]
	v_mul_f64 v[72:73], v[48:49], v[76:77]
	v_mul_f64 v[76:77], v[60:61], v[80:81]
	v_fma_f64 v[12:13], v[12:13], -0.5, v[14:15]
	v_add_f64 v[52:53], v[2:3], v[56:57]
	v_add_f64 v[85:86], v[64:65], v[66:67]
	v_fma_f64 v[6:7], v[38:39], s[2:3], v[58:59]
	v_fma_f64 v[68:69], v[74:75], v[48:49], v[68:69]
	v_fma_f64 v[60:61], v[78:79], v[60:61], v[70:71]
	v_fma_f64 v[4:5], v[4:5], v[74:75], -v[72:73]
	v_fma_f64 v[72:73], v[10:11], v[78:79], -v[76:77]
	v_add_f64 v[10:11], v[83:84], v[14:15]
	ds_read_b64 v[70:71], v129
	v_add_f64 v[80:81], v[64:65], -v[66:67]
	v_fma_f64 v[48:49], v[38:39], s[0:1], v[58:59]
	v_add_f64 v[74:75], v[83:84], -v[62:63]
	v_add_f64 v[14:15], v[68:69], v[60:61]
	v_fma_f64 v[38:39], v[85:86], -0.5, v[0:1]
	v_add_f64 v[56:57], v[4:5], v[72:73]
	v_add_f64 v[58:59], v[62:63], v[10:11]
	;; [unrolled: 1-line block ×3, first 2 shown]
	v_add_f64 v[64:65], v[4:5], -v[72:73]
	v_add_f64 v[4:5], v[30:31], v[4:5]
	v_mov_b32_e32 v129, v29
	s_waitcnt lgkmcnt(0)
	v_fma_f64 v[14:15], v[14:15], -0.5, v[70:71]
	v_add_f64 v[70:71], v[68:69], v[70:71]
	v_fma_f64 v[76:77], v[56:57], -0.5, v[30:31]
	v_add_f64 v[68:69], v[68:69], -v[60:61]
	v_add_f64 v[56:57], v[62:63], v[66:67]
	v_fma_f64 v[0:1], v[74:75], s[2:3], v[38:39]
	v_fma_f64 v[10:11], v[74:75], s[0:1], v[38:39]
	v_add_co_u32_e32 v38, vcc, s12, v130
	v_fma_f64 v[62:63], v[64:65], s[0:1], v[14:15]
	v_fma_f64 v[66:67], v[64:65], s[2:3], v[14:15]
	;; [unrolled: 1-line block ×3, first 2 shown]
	v_add_f64 v[70:71], v[70:71], v[60:61]
	v_fma_f64 v[60:61], v[68:69], s[2:3], v[76:77]
	v_add_f64 v[68:69], v[4:5], v[72:73]
	v_mov_b32_e32 v4, s13
	v_addc_co_u32_e32 v39, vcc, v4, v131, vcc
	v_lshlrev_b64 v[4:5], 4, v[128:129]
	v_fma_f64 v[2:3], v[80:81], s[0:1], v[12:13]
	v_fma_f64 v[12:13], v[80:81], s[2:3], v[12:13]
	v_add_co_u32_e32 v4, vcc, v38, v4
	v_addc_co_u32_e32 v5, vcc, v39, v5, vcc
	v_add_co_u32_e32 v14, vcc, s4, v4
	v_addc_co_u32_e32 v15, vcc, 0, v5, vcc
	s_movk_i32 s0, 0x3000
	s_mov_b32 s1, 0x20120121
	global_store_dwordx4 v[14:15], v[64:67], off offset:3184
	v_add_co_u32_e32 v14, vcc, s0, v4
	v_mul_hi_u32 v28, v82, s1
	v_addc_co_u32_e32 v15, vcc, 0, v5, vcc
	v_add_co_u32_e32 v30, vcc, s5, v4
	v_addc_co_u32_e32 v31, vcc, 0, v5, vcc
	global_store_dwordx4 v[4:5], v[68:71], off
	global_store_dwordx4 v[14:15], v[60:63], off offset:2272
	global_store_dwordx4 v[4:5], v[56:59], off offset:1456
	;; [unrolled: 1-line block ×4, first 2 shown]
	s_movk_i32 s3, 0x4000
	v_sub_u32_e32 v0, v82, v28
	v_lshrrev_b32_e32 v0, 1, v0
	v_add_u32_e32 v0, v0, v28
	v_lshrrev_b32_e32 v0, 8, v0
	v_mul_u32_u24_e32 v28, 0x38e, v0
	v_lshlrev_b64 v[0:1], 4, v[28:29]
	s_movk_i32 s2, 0x38e
	v_add_co_u32_e32 v0, vcc, v4, v0
	v_addc_co_u32_e32 v1, vcc, v5, v1, vcc
	v_add_co_u32_e32 v2, vcc, s5, v0
	v_addc_co_u32_e32 v3, vcc, 0, v1, vcc
	global_store_dwordx4 v[2:3], v[48:51], off offset:2000
	v_mul_hi_u32 v2, v33, s1
	global_store_dwordx4 v[0:1], v[52:55], off offset:2912
	v_add_co_u32_e32 v0, vcc, s3, v0
	v_addc_co_u32_e32 v1, vcc, 0, v1, vcc
	global_store_dwordx4 v[0:1], v[6:9], off offset:1088
	v_sub_u32_e32 v0, v33, v2
	v_lshrrev_b32_e32 v0, 1, v0
	v_add_u32_e32 v0, v0, v2
	v_lshrrev_b32_e32 v0, 8, v0
	v_mad_u32_u24 v28, v0, s2, v33
	v_lshlrev_b64 v[0:1], 4, v[28:29]
	v_add_co_u32_e32 v0, vcc, v38, v0
	v_addc_co_u32_e32 v1, vcc, v39, v1, vcc
	v_add_co_u32_e32 v2, vcc, s4, v0
	v_addc_co_u32_e32 v3, vcc, 0, v1, vcc
	global_store_dwordx4 v[2:3], v[34:37], off offset:3184
	v_mul_hi_u32 v2, v32, s1
	global_store_dwordx4 v[0:1], v[16:19], off
	v_add_co_u32_e32 v0, vcc, s0, v0
	v_addc_co_u32_e32 v1, vcc, 0, v1, vcc
	global_store_dwordx4 v[0:1], v[20:23], off offset:2272
	v_sub_u32_e32 v0, v32, v2
	v_lshrrev_b32_e32 v0, 1, v0
	v_add_u32_e32 v0, v0, v2
	v_lshrrev_b32_e32 v0, 8, v0
	v_mad_u32_u24 v28, v0, s2, v32
	v_lshlrev_b64 v[0:1], 4, v[28:29]
	v_add_co_u32_e32 v0, vcc, v38, v0
	v_addc_co_u32_e32 v1, vcc, v39, v1, vcc
	v_add_co_u32_e32 v2, vcc, 0x1000, v0
	v_addc_co_u32_e32 v3, vcc, 0, v1, vcc
	global_store_dwordx4 v[0:1], v[44:47], off
	v_add_co_u32_e32 v0, vcc, 0x3000, v0
	v_addc_co_u32_e32 v1, vcc, 0, v1, vcc
	global_store_dwordx4 v[2:3], v[40:43], off offset:3184
	global_store_dwordx4 v[0:1], v[24:27], off offset:2272
.LBB0_27:
	s_endpgm
	.section	.rodata,"a",@progbits
	.p2align	6, 0x0
	.amdhsa_kernel fft_rtc_fwd_len1365_factors_13_7_5_3_wgs_182_tpt_91_halfLds_dp_ip_CI_unitstride_sbrr_dirReg
		.amdhsa_group_segment_fixed_size 0
		.amdhsa_private_segment_fixed_size 0
		.amdhsa_kernarg_size 88
		.amdhsa_user_sgpr_count 6
		.amdhsa_user_sgpr_private_segment_buffer 1
		.amdhsa_user_sgpr_dispatch_ptr 0
		.amdhsa_user_sgpr_queue_ptr 0
		.amdhsa_user_sgpr_kernarg_segment_ptr 1
		.amdhsa_user_sgpr_dispatch_id 0
		.amdhsa_user_sgpr_flat_scratch_init 0
		.amdhsa_user_sgpr_private_segment_size 0
		.amdhsa_uses_dynamic_stack 0
		.amdhsa_system_sgpr_private_segment_wavefront_offset 0
		.amdhsa_system_sgpr_workgroup_id_x 1
		.amdhsa_system_sgpr_workgroup_id_y 0
		.amdhsa_system_sgpr_workgroup_id_z 0
		.amdhsa_system_sgpr_workgroup_info 0
		.amdhsa_system_vgpr_workitem_id 0
		.amdhsa_next_free_vgpr 233
		.amdhsa_next_free_sgpr 46
		.amdhsa_reserve_vcc 1
		.amdhsa_reserve_flat_scratch 0
		.amdhsa_float_round_mode_32 0
		.amdhsa_float_round_mode_16_64 0
		.amdhsa_float_denorm_mode_32 3
		.amdhsa_float_denorm_mode_16_64 3
		.amdhsa_dx10_clamp 1
		.amdhsa_ieee_mode 1
		.amdhsa_fp16_overflow 0
		.amdhsa_exception_fp_ieee_invalid_op 0
		.amdhsa_exception_fp_denorm_src 0
		.amdhsa_exception_fp_ieee_div_zero 0
		.amdhsa_exception_fp_ieee_overflow 0
		.amdhsa_exception_fp_ieee_underflow 0
		.amdhsa_exception_fp_ieee_inexact 0
		.amdhsa_exception_int_div_zero 0
	.end_amdhsa_kernel
	.text
.Lfunc_end0:
	.size	fft_rtc_fwd_len1365_factors_13_7_5_3_wgs_182_tpt_91_halfLds_dp_ip_CI_unitstride_sbrr_dirReg, .Lfunc_end0-fft_rtc_fwd_len1365_factors_13_7_5_3_wgs_182_tpt_91_halfLds_dp_ip_CI_unitstride_sbrr_dirReg
                                        ; -- End function
	.section	.AMDGPU.csdata,"",@progbits
; Kernel info:
; codeLenInByte = 17372
; NumSgprs: 50
; NumVgprs: 233
; ScratchSize: 0
; MemoryBound: 1
; FloatMode: 240
; IeeeMode: 1
; LDSByteSize: 0 bytes/workgroup (compile time only)
; SGPRBlocks: 6
; VGPRBlocks: 58
; NumSGPRsForWavesPerEU: 50
; NumVGPRsForWavesPerEU: 233
; Occupancy: 1
; WaveLimiterHint : 1
; COMPUTE_PGM_RSRC2:SCRATCH_EN: 0
; COMPUTE_PGM_RSRC2:USER_SGPR: 6
; COMPUTE_PGM_RSRC2:TRAP_HANDLER: 0
; COMPUTE_PGM_RSRC2:TGID_X_EN: 1
; COMPUTE_PGM_RSRC2:TGID_Y_EN: 0
; COMPUTE_PGM_RSRC2:TGID_Z_EN: 0
; COMPUTE_PGM_RSRC2:TIDIG_COMP_CNT: 0
	.type	__hip_cuid_c7ba77966d2dd65e,@object ; @__hip_cuid_c7ba77966d2dd65e
	.section	.bss,"aw",@nobits
	.globl	__hip_cuid_c7ba77966d2dd65e
__hip_cuid_c7ba77966d2dd65e:
	.byte	0                               ; 0x0
	.size	__hip_cuid_c7ba77966d2dd65e, 1

	.ident	"AMD clang version 19.0.0git (https://github.com/RadeonOpenCompute/llvm-project roc-6.4.0 25133 c7fe45cf4b819c5991fe208aaa96edf142730f1d)"
	.section	".note.GNU-stack","",@progbits
	.addrsig
	.addrsig_sym __hip_cuid_c7ba77966d2dd65e
	.amdgpu_metadata
---
amdhsa.kernels:
  - .args:
      - .actual_access:  read_only
        .address_space:  global
        .offset:         0
        .size:           8
        .value_kind:     global_buffer
      - .offset:         8
        .size:           8
        .value_kind:     by_value
      - .actual_access:  read_only
        .address_space:  global
        .offset:         16
        .size:           8
        .value_kind:     global_buffer
      - .actual_access:  read_only
        .address_space:  global
        .offset:         24
        .size:           8
        .value_kind:     global_buffer
      - .offset:         32
        .size:           8
        .value_kind:     by_value
      - .actual_access:  read_only
        .address_space:  global
        .offset:         40
        .size:           8
        .value_kind:     global_buffer
      - .actual_access:  read_only
        .address_space:  global
        .offset:         48
        .size:           8
        .value_kind:     global_buffer
      - .offset:         56
        .size:           4
        .value_kind:     by_value
      - .actual_access:  read_only
        .address_space:  global
        .offset:         64
        .size:           8
        .value_kind:     global_buffer
      - .actual_access:  read_only
        .address_space:  global
        .offset:         72
        .size:           8
        .value_kind:     global_buffer
      - .address_space:  global
        .offset:         80
        .size:           8
        .value_kind:     global_buffer
    .group_segment_fixed_size: 0
    .kernarg_segment_align: 8
    .kernarg_segment_size: 88
    .language:       OpenCL C
    .language_version:
      - 2
      - 0
    .max_flat_workgroup_size: 182
    .name:           fft_rtc_fwd_len1365_factors_13_7_5_3_wgs_182_tpt_91_halfLds_dp_ip_CI_unitstride_sbrr_dirReg
    .private_segment_fixed_size: 0
    .sgpr_count:     50
    .sgpr_spill_count: 0
    .symbol:         fft_rtc_fwd_len1365_factors_13_7_5_3_wgs_182_tpt_91_halfLds_dp_ip_CI_unitstride_sbrr_dirReg.kd
    .uniform_work_group_size: 1
    .uses_dynamic_stack: false
    .vgpr_count:     233
    .vgpr_spill_count: 0
    .wavefront_size: 64
amdhsa.target:   amdgcn-amd-amdhsa--gfx906
amdhsa.version:
  - 1
  - 2
...

	.end_amdgpu_metadata
